;; amdgpu-corpus repo=ROCm/rocFFT kind=compiled arch=gfx950 opt=O3
	.text
	.amdgcn_target "amdgcn-amd-amdhsa--gfx950"
	.amdhsa_code_object_version 6
	.protected	bluestein_single_back_len1232_dim1_sp_op_CI_CI ; -- Begin function bluestein_single_back_len1232_dim1_sp_op_CI_CI
	.globl	bluestein_single_back_len1232_dim1_sp_op_CI_CI
	.p2align	8
	.type	bluestein_single_back_len1232_dim1_sp_op_CI_CI,@function
bluestein_single_back_len1232_dim1_sp_op_CI_CI: ; @bluestein_single_back_len1232_dim1_sp_op_CI_CI
; %bb.0:
	s_load_dwordx4 s[8:11], s[0:1], 0x28
	v_mul_u32_u24_e32 v1, 0x175, v0
	v_mov_b32_e32 v61, 0
	v_add_u32_sdwa v66, s2, v1 dst_sel:DWORD dst_unused:UNUSED_PAD src0_sel:DWORD src1_sel:WORD_1
	v_mov_b32_e32 v67, v61
	s_waitcnt lgkmcnt(0)
	v_cmp_gt_u64_e32 vcc, s[8:9], v[66:67]
	s_and_saveexec_b64 s[2:3], vcc
	s_cbranch_execz .LBB0_47
; %bb.1:
	s_load_dwordx4 s[4:7], s[0:1], 0x18
	s_load_dwordx2 s[14:15], s[0:1], 0x0
	v_mov_b32_e32 v2, s10
	v_mov_b32_e32 v3, s11
	s_movk_i32 s2, 0xb0
	s_waitcnt lgkmcnt(0)
	s_load_dwordx4 s[8:11], s[4:5], 0x0
	v_mul_lo_u16_sdwa v1, v1, s2 dst_sel:DWORD dst_unused:UNUSED_PAD src0_sel:WORD_1 src1_sel:DWORD
	v_sub_u16_e32 v60, v0, v1
	v_lshlrev_b32_e32 v56, 3, v60
	v_mov_b32_e32 v57, v61
	s_waitcnt lgkmcnt(0)
	v_mad_u64_u32 v[0:1], s[2:3], s10, v66, 0
	v_mov_b32_e32 v4, v1
	v_mad_u64_u32 v[4:5], s[2:3], s11, v66, v[4:5]
	v_mov_b32_e32 v1, v4
	v_mad_u64_u32 v[4:5], s[2:3], s8, v60, 0
	v_mov_b32_e32 v6, v5
	v_mad_u64_u32 v[6:7], s[2:3], s9, v60, v[6:7]
	v_lshl_add_u64 v[58:59], s[14:15], 0, v[56:57]
	s_movk_i32 s10, 0x1000
	s_mul_i32 s2, s9, 0x268
	s_mul_hi_u32 s3, s8, 0x268
	v_add_co_u32_e32 v8, vcc, s10, v58
	s_mul_hi_u32 s10, s8, 0xfffffe48
	v_mov_b32_e32 v5, v6
	v_lshl_add_u64 v[0:1], v[0:1], 3, v[2:3]
	s_add_i32 s3, s3, s2
	s_mul_i32 s2, s8, 0x268
	s_mulk_i32 s9, 0xfe48
	s_sub_i32 s10, s10, s8
	v_lshl_add_u64 v[0:1], v[4:5], 3, v[0:1]
	s_lshl_b64 s[4:5], s[2:3], 3
	s_add_i32 s17, s10, s9
	s_mul_i32 s16, s8, 0xfffffe48
	v_lshl_add_u64 v[2:3], v[0:1], 0, s[4:5]
	global_load_dwordx2 v[4:5], v[0:1], off
	global_load_dwordx2 v[6:7], v[2:3], off
	v_addc_co_u32_e32 v9, vcc, 0, v59, vcc
	global_load_dwordx2 v[74:75], v56, s[14:15]
	s_lshl_b64 s[8:9], s[16:17], 3
	global_load_dwordx2 v[72:73], v[8:9], off offset:832
	v_lshl_add_u64 v[0:1], v[2:3], 0, s[8:9]
	global_load_dwordx2 v[2:3], v[0:1], off
	global_load_dwordx2 v[70:71], v56, s[14:15] offset:1408
	v_lshl_add_u64 v[0:1], v[0:1], 0, s[4:5]
	global_load_dwordx2 v[68:69], v[8:9], off offset:2240
	global_load_dwordx2 v[10:11], v[0:1], off
	v_lshl_add_u64 v[0:1], v[0:1], 0, s[8:9]
	global_load_dwordx2 v[12:13], v[0:1], off
	global_load_dwordx2 v[64:65], v56, s[14:15] offset:2816
	v_lshl_add_u64 v[0:1], v[0:1], 0, s[4:5]
	global_load_dwordx2 v[62:63], v[8:9], off offset:3648
	global_load_dwordx2 v[14:15], v[0:1], off
	s_load_dwordx2 s[12:13], s[0:1], 0x38
	s_load_dwordx4 s[8:11], s[6:7], 0x0
	s_movk_i32 s4, 0x58
	v_add_u32_e32 v16, 0x1800, v56
	v_cmp_gt_u16_e64 s[4:5], s4, v60
	s_waitcnt vmcnt(9)
	v_mul_f32_e32 v8, v5, v75
	v_mul_f32_e32 v9, v4, v75
	v_fmac_f32_e32 v8, v4, v74
	v_fma_f32 v9, v5, v74, -v9
	s_waitcnt vmcnt(8)
	v_mul_f32_e32 v4, v7, v73
	v_mul_f32_e32 v5, v6, v73
	v_fmac_f32_e32 v4, v6, v72
	v_fma_f32 v5, v7, v72, -v5
	;; [unrolled: 5-line block ×3, first 2 shown]
	ds_write_b64 v56, v[4:5] offset:4928
	s_waitcnt vmcnt(4)
	v_mul_f32_e32 v2, v11, v69
	v_mul_f32_e32 v3, v10, v69
	ds_write2_b64 v56, v[8:9], v[6:7] offset1:176
	s_waitcnt vmcnt(2)
	v_mul_f32_e32 v4, v13, v65
	v_mul_f32_e32 v5, v12, v65
	s_waitcnt vmcnt(0)
	v_mul_f32_e32 v6, v15, v63
	v_mul_f32_e32 v7, v14, v63
	v_fmac_f32_e32 v2, v10, v68
	v_fma_f32 v3, v11, v68, -v3
	v_fmac_f32_e32 v4, v12, v64
	v_fma_f32 v5, v13, v64, -v5
	;; [unrolled: 2-line block ×3, first 2 shown]
	ds_write_b64 v56, v[4:5] offset:2816
	ds_write2_b64 v16, v[2:3], v[6:7] offset0:24 offset1:200
	s_and_saveexec_b64 s[6:7], s[4:5]
	s_cbranch_execz .LBB0_3
; %bb.2:
	v_add_co_u32_e32 v4, vcc, 0x1000, v58
	v_lshl_add_u64 v[0:1], s[16:17], 3, v[0:1]
	s_nop 0
	v_addc_co_u32_e32 v5, vcc, 0, v59, vcc
	v_add_co_u32_e32 v6, vcc, 0x2000, v58
	global_load_dwordx2 v[2:3], v[0:1], off
	v_lshl_add_u64 v[0:1], s[2:3], 3, v[0:1]
	global_load_dwordx2 v[4:5], v[4:5], off offset:128
	v_addc_co_u32_e32 v7, vcc, 0, v59, vcc
	global_load_dwordx2 v[6:7], v[6:7], off offset:960
	s_waitcnt vmcnt(1)
	v_mul_f32_e32 v8, v3, v5
	global_load_dwordx2 v[0:1], v[0:1], off
	v_mul_f32_e32 v5, v2, v5
	v_fmac_f32_e32 v8, v2, v4
	v_fma_f32 v9, v3, v4, -v5
	ds_write_b64 v56, v[8:9] offset:4224
	s_waitcnt vmcnt(0)
	v_mul_f32_e32 v2, v1, v7
	v_mul_f32_e32 v3, v0, v7
	v_fmac_f32_e32 v2, v0, v6
	v_fma_f32 v3, v1, v6, -v3
	ds_write_b64 v56, v[2:3] offset:9152
.LBB0_3:
	s_or_b64 exec, exec, s[6:7]
	v_add_u32_e32 v0, 0x1200, v56
	s_waitcnt lgkmcnt(0)
	s_barrier
	ds_read2_b64 v[4:7], v56 offset1:176
	ds_read2_b64 v[0:3], v0 offset0:40 offset1:216
	ds_read_b64 v[8:9], v56 offset:2816
	ds_read_b64 v[14:15], v56 offset:7744
                                        ; implicit-def: $vgpr10
                                        ; implicit-def: $vgpr16
	s_and_saveexec_b64 s[2:3], s[4:5]
	s_cbranch_execz .LBB0_5
; %bb.4:
	ds_read_b64 v[10:11], v56 offset:4224
	ds_read_b64 v[16:17], v56 offset:9152
.LBB0_5:
	s_or_b64 exec, exec, s[2:3]
	s_load_dwordx2 s[0:1], s[0:1], 0x8
	s_waitcnt lgkmcnt(0)
	v_pk_add_f32 v[22:23], v[4:5], v[0:1] neg_lo:[0,1] neg_hi:[0,1]
	v_lshlrev_b32_e32 v18, 1, v60
	s_mov_b64 s[2:3], 0x210
	v_pk_add_f32 v[24:25], v[6:7], v[2:3] neg_lo:[0,1] neg_hi:[0,1]
	v_lshlrev_b32_e32 v179, 4, v60
	v_pk_fma_f32 v[20:21], v[4:5], 2.0, v[22:23] op_sel_hi:[1,0,1] neg_lo:[0,0,1] neg_hi:[0,0,1]
	v_lshl_add_u64 v[12:13], v[60:61], 0, s[2:3]
	v_pk_add_f32 v[26:27], v[8:9], v[14:15] neg_lo:[0,1] neg_hi:[0,1]
	v_pk_add_f32 v[2:3], v[10:11], v[16:17] neg_lo:[0,1] neg_hi:[0,1]
	s_barrier
	ds_write_b128 v179, v[20:23]
	v_pk_fma_f32 v[22:23], v[6:7], 2.0, v[24:25] op_sel_hi:[1,0,1] neg_lo:[0,0,1] neg_hi:[0,0,1]
	v_lshlrev_b32_e32 v4, 3, v18
	v_pk_fma_f32 v[0:1], v[10:11], 2.0, v[2:3] op_sel_hi:[1,0,1] neg_lo:[0,0,1] neg_hi:[0,0,1]
	v_add_u32_e32 v186, 0x160, v18
	ds_write_b128 v4, v[22:25] offset:2816
	v_add_u32_e32 v188, 0x2c0, v18
	v_pk_fma_f32 v[24:25], v[8:9], 2.0, v[26:27] op_sel_hi:[1,0,1] neg_lo:[0,0,1] neg_hi:[0,0,1]
	v_lshlrev_b32_e32 v178, 4, v12
	ds_write_b128 v4, v[24:27] offset:5632
	s_and_saveexec_b64 s[2:3], s[4:5]
	s_cbranch_execz .LBB0_7
; %bb.6:
	ds_write_b128 v178, v[0:3]
.LBB0_7:
	s_or_b64 exec, exec, s[2:3]
	v_add_u32_e32 v8, 0x1200, v56
	s_waitcnt lgkmcnt(0)
	s_barrier
	ds_read2_b64 v[4:7], v56 offset1:176
	ds_read2_b64 v[8:11], v8 offset0:40 offset1:216
	ds_read_b64 v[14:15], v56 offset:2816
	ds_read_b64 v[16:17], v56 offset:7744
	s_and_saveexec_b64 s[2:3], s[4:5]
	s_cbranch_execz .LBB0_9
; %bb.8:
	ds_read_b64 v[0:1], v56 offset:4224
	ds_read_b64 v[2:3], v56 offset:9152
.LBB0_9:
	s_or_b64 exec, exec, s[2:3]
	v_and_b32_e32 v61, 1, v60
	v_lshlrev_b32_e32 v13, 3, v61
	global_load_dwordx2 v[48:49], v13, s[0:1]
	s_movk_i32 s6, 0x7fc
	v_and_or_b32 v20, v188, s6, v61
	v_lshlrev_b32_e32 v180, 3, v20
	s_movk_i32 s2, 0x1fc
	s_movk_i32 s3, 0x3fc
	v_and_or_b32 v13, v18, s2, v61
	v_and_or_b32 v19, v186, s3, v61
	v_lshlrev_b32_e32 v183, 3, v13
	v_lshlrev_b32_e32 v181, 3, v19
	;; [unrolled: 1-line block ×3, first 2 shown]
	s_waitcnt lgkmcnt(0)
	s_barrier
	s_waitcnt vmcnt(0)
	v_pk_mul_f32 v[20:21], v[2:3], v[48:49] op_sel:[1,0]
	v_pk_mul_f32 v[22:23], v[8:9], v[48:49] op_sel:[0,1]
	;; [unrolled: 1-line block ×4, first 2 shown]
	v_pk_fma_f32 v[28:29], v[2:3], v[48:49], v[20:21] op_sel:[0,0,1] op_sel_hi:[1,1,0] neg_lo:[0,0,1] neg_hi:[0,0,1]
	v_pk_fma_f32 v[2:3], v[2:3], v[48:49], v[20:21] op_sel:[0,0,1] op_sel_hi:[0,1,0]
	v_pk_fma_f32 v[20:21], v[8:9], v[48:49], v[22:23] op_sel:[0,0,1] op_sel_hi:[1,1,0] neg_lo:[0,0,1] neg_hi:[0,0,1]
	v_pk_fma_f32 v[8:9], v[8:9], v[48:49], v[22:23] op_sel:[0,0,1] op_sel_hi:[1,0,0]
	;; [unrolled: 2-line block ×4, first 2 shown]
	v_mov_b32_e32 v29, v3
	v_mov_b32_e32 v21, v9
	;; [unrolled: 1-line block ×4, first 2 shown]
	v_pk_add_f32 v[10:11], v[0:1], v[28:29] neg_lo:[0,1] neg_hi:[0,1]
	v_pk_add_f32 v[2:3], v[4:5], v[20:21] neg_lo:[0,1] neg_hi:[0,1]
	;; [unrolled: 1-line block ×4, first 2 shown]
	v_pk_fma_f32 v[8:9], v[0:1], 2.0, v[10:11] op_sel_hi:[1,0,1] neg_lo:[0,0,1] neg_hi:[0,0,1]
	v_pk_fma_f32 v[0:1], v[4:5], 2.0, v[2:3] op_sel_hi:[1,0,1] neg_lo:[0,0,1] neg_hi:[0,0,1]
	;; [unrolled: 1-line block ×4, first 2 shown]
	ds_write2_b64 v183, v[0:1], v[2:3] offset1:2
	ds_write2_b64 v181, v[4:5], v[16:17] offset1:2
	;; [unrolled: 1-line block ×3, first 2 shown]
	s_and_saveexec_b64 s[2:3], s[4:5]
	s_cbranch_execz .LBB0_11
; %bb.10:
	s_movk_i32 s6, 0x5fc
	v_and_or_b32 v0, v57, s6, v61
	v_lshlrev_b32_e32 v0, 3, v0
	ds_write2_b64 v0, v[8:9], v[10:11] offset1:2
.LBB0_11:
	s_or_b64 exec, exec, s[2:3]
	v_add_u32_e32 v4, 0x1200, v56
	s_waitcnt lgkmcnt(0)
	s_barrier
	ds_read2_b64 v[0:3], v56 offset1:176
	ds_read2_b64 v[4:7], v4 offset0:40 offset1:216
	ds_read_b64 v[12:13], v56 offset:2816
	ds_read_b64 v[14:15], v56 offset:7744
	s_and_saveexec_b64 s[2:3], s[4:5]
	s_cbranch_execz .LBB0_13
; %bb.12:
	ds_read_b64 v[8:9], v56 offset:4224
	ds_read_b64 v[10:11], v56 offset:9152
.LBB0_13:
	s_or_b64 exec, exec, s[2:3]
	v_and_b32_e32 v67, 3, v60
	v_lshlrev_b32_e32 v16, 3, v67
	global_load_dwordx2 v[50:51], v16, s[0:1] offset:16
	s_movk_i32 s2, 0x1f8
	s_movk_i32 s3, 0x3f8
	v_and_or_b32 v16, v18, s2, v67
	v_and_or_b32 v17, v186, s3, v67
	v_lshlrev_b32_e32 v187, 3, v16
	v_lshlrev_b32_e32 v185, 3, v17
	s_movk_i32 s6, 0x7f8
	v_and_or_b32 v19, v188, s6, v67
	v_lshlrev_b32_e32 v184, 3, v19
	s_waitcnt lgkmcnt(0)
	s_barrier
	s_waitcnt vmcnt(0)
	v_pk_mul_f32 v[16:17], v[10:11], v[50:51] op_sel:[1,0]
	v_pk_mul_f32 v[20:21], v[4:5], v[50:51] op_sel:[0,1]
	;; [unrolled: 1-line block ×4, first 2 shown]
	v_pk_fma_f32 v[26:27], v[10:11], v[50:51], v[16:17] op_sel:[0,0,1] op_sel_hi:[1,1,0] neg_lo:[0,0,1] neg_hi:[0,0,1]
	v_pk_fma_f32 v[10:11], v[10:11], v[50:51], v[16:17] op_sel:[0,0,1] op_sel_hi:[0,1,0]
	v_pk_fma_f32 v[16:17], v[4:5], v[50:51], v[20:21] op_sel:[0,0,1] op_sel_hi:[1,1,0] neg_lo:[0,0,1] neg_hi:[0,0,1]
	v_pk_fma_f32 v[4:5], v[4:5], v[50:51], v[20:21] op_sel:[0,0,1] op_sel_hi:[1,0,0]
	;; [unrolled: 2-line block ×4, first 2 shown]
	v_mov_b32_e32 v27, v11
	v_mov_b32_e32 v17, v5
	;; [unrolled: 1-line block ×4, first 2 shown]
	v_pk_add_f32 v[10:11], v[8:9], v[26:27] neg_lo:[0,1] neg_hi:[0,1]
	v_pk_add_f32 v[4:5], v[0:1], v[16:17] neg_lo:[0,1] neg_hi:[0,1]
	;; [unrolled: 1-line block ×4, first 2 shown]
	v_pk_fma_f32 v[8:9], v[8:9], 2.0, v[10:11] op_sel_hi:[1,0,1] neg_lo:[0,0,1] neg_hi:[0,0,1]
	v_pk_fma_f32 v[0:1], v[0:1], 2.0, v[4:5] op_sel_hi:[1,0,1] neg_lo:[0,0,1] neg_hi:[0,0,1]
	;; [unrolled: 1-line block ×4, first 2 shown]
	ds_write2_b64 v187, v[0:1], v[4:5] offset1:4
	ds_write2_b64 v185, v[2:3], v[6:7] offset1:4
	;; [unrolled: 1-line block ×3, first 2 shown]
	s_and_saveexec_b64 s[2:3], s[4:5]
	s_cbranch_execz .LBB0_15
; %bb.14:
	s_movk_i32 s6, 0x5f8
	v_and_or_b32 v0, v57, s6, v67
	v_lshlrev_b32_e32 v0, 3, v0
	ds_write2_b64 v0, v[8:9], v[10:11] offset1:4
.LBB0_15:
	s_or_b64 exec, exec, s[2:3]
	v_add_u32_e32 v4, 0x1200, v56
	s_waitcnt lgkmcnt(0)
	s_barrier
	ds_read2_b64 v[0:3], v56 offset1:176
	ds_read2_b64 v[4:7], v4 offset0:40 offset1:216
	ds_read_b64 v[12:13], v56 offset:2816
	ds_read_b64 v[14:15], v56 offset:7744
	s_and_saveexec_b64 s[2:3], s[4:5]
	s_cbranch_execz .LBB0_17
; %bb.16:
	ds_read_b64 v[8:9], v56 offset:4224
	ds_read_b64 v[10:11], v56 offset:9152
.LBB0_17:
	s_or_b64 exec, exec, s[2:3]
	v_and_b32_e32 v182, 7, v60
	v_lshlrev_b32_e32 v16, 3, v182
	global_load_dwordx2 v[76:77], v16, s[0:1] offset:48
	s_movk_i32 s2, 0x1f0
	s_movk_i32 s3, 0x3f0
	;; [unrolled: 1-line block ×3, first 2 shown]
	v_and_or_b32 v16, v18, s2, v182
	v_and_or_b32 v17, v186, s3, v182
	;; [unrolled: 1-line block ×3, first 2 shown]
	v_lshlrev_b32_e32 v190, 3, v16
	v_lshlrev_b32_e32 v191, 3, v17
	v_lshlrev_b32_e32 v192, 3, v18
	s_waitcnt lgkmcnt(0)
	s_barrier
	s_waitcnt vmcnt(0)
	v_pk_mul_f32 v[16:17], v[4:5], v[76:77] op_sel:[0,1]
	v_pk_mul_f32 v[18:19], v[6:7], v[76:77] op_sel:[0,1]
	;; [unrolled: 1-line block ×4, first 2 shown]
	v_pk_fma_f32 v[24:25], v[4:5], v[76:77], v[16:17] op_sel:[0,0,1] op_sel_hi:[1,1,0] neg_lo:[0,0,1] neg_hi:[0,0,1]
	v_pk_fma_f32 v[4:5], v[4:5], v[76:77], v[16:17] op_sel:[0,0,1] op_sel_hi:[1,0,0]
	v_pk_fma_f32 v[16:17], v[6:7], v[76:77], v[18:19] op_sel:[0,0,1] op_sel_hi:[1,1,0] neg_lo:[0,0,1] neg_hi:[0,0,1]
	v_pk_fma_f32 v[6:7], v[6:7], v[76:77], v[18:19] op_sel:[0,0,1] op_sel_hi:[1,0,0]
	;; [unrolled: 2-line block ×4, first 2 shown]
	v_mov_b32_e32 v25, v5
	v_mov_b32_e32 v17, v7
	;; [unrolled: 1-line block ×4, first 2 shown]
	v_pk_add_f32 v[22:23], v[0:1], v[24:25] neg_lo:[0,1] neg_hi:[0,1]
	v_pk_add_f32 v[26:27], v[2:3], v[16:17] neg_lo:[0,1] neg_hi:[0,1]
	;; [unrolled: 1-line block ×4, first 2 shown]
	v_pk_fma_f32 v[20:21], v[0:1], 2.0, v[22:23] op_sel_hi:[1,0,1] neg_lo:[0,0,1] neg_hi:[0,0,1]
	v_pk_fma_f32 v[24:25], v[2:3], 2.0, v[26:27] op_sel_hi:[1,0,1] neg_lo:[0,0,1] neg_hi:[0,0,1]
	;; [unrolled: 1-line block ×4, first 2 shown]
	ds_write2_b64 v190, v[20:21], v[22:23] offset1:8
	ds_write2_b64 v191, v[24:25], v[26:27] offset1:8
	;; [unrolled: 1-line block ×3, first 2 shown]
	s_and_saveexec_b64 s[2:3], s[4:5]
	s_cbranch_execz .LBB0_19
; %bb.18:
	s_movk_i32 s6, 0x5f0
	v_and_or_b32 v0, v57, s6, v182
	v_lshlrev_b32_e32 v0, 3, v0
	ds_write2_b64 v0, v[32:33], v[34:35] offset1:8
.LBB0_19:
	s_or_b64 exec, exec, s[2:3]
	s_movk_i32 s2, 0x70
	v_cmp_gt_u16_e64 s[2:3], s2, v60
	s_waitcnt lgkmcnt(0)
	s_barrier
	s_waitcnt lgkmcnt(0)
                                        ; implicit-def: $vgpr36
                                        ; implicit-def: $vgpr42
                                        ; implicit-def: $vgpr44
                                        ; implicit-def: $vgpr40
                                        ; implicit-def: $vgpr46
	s_and_saveexec_b64 s[6:7], s[2:3]
	s_cbranch_execz .LBB0_21
; %bb.20:
	v_add_u32_e32 v0, 0x400, v56
	ds_read2_b64 v[24:27], v0 offset0:96 offset1:208
	v_add_u32_e32 v0, 0xc00, v56
	ds_read2_b64 v[28:31], v0 offset0:64 offset1:176
	v_add_u32_e32 v0, 0x1800, v56
	ds_read2_b64 v[36:39], v0 offset0:128 offset1:240
	ds_read2_b64 v[20:23], v56 offset1:112
	v_add_u32_e32 v0, 0x1400, v56
	ds_read_b64 v[40:41], v56 offset:8960
	ds_read2_b64 v[32:35], v0 offset0:32 offset1:144
	s_waitcnt lgkmcnt(3)
	v_mov_b32_e32 v42, v37
	v_mov_b32_e32 v44, v39
	s_waitcnt lgkmcnt(1)
	v_mov_b32_e32 v46, v41
.LBB0_21:
	s_or_b64 exec, exec, s[6:7]
	v_and_b32_e32 v189, 15, v60
	s_movk_i32 s6, 0x50
	v_mov_b64_e32 v[0:1], s[0:1]
	v_mad_u64_u32 v[52:53], s[6:7], v189, s6, v[0:1]
	global_load_dwordx4 v[0:3], v[52:53], off offset:112
	global_load_dwordx4 v[8:11], v[52:53], off offset:128
	;; [unrolled: 1-line block ×5, first 2 shown]
	s_mov_b32 s16, 0xbf7d64f0
	s_mov_b32 s6, 0xbe11bafb
	;; [unrolled: 1-line block ×12, first 2 shown]
	s_waitcnt lgkmcnt(0)
	s_barrier
	s_waitcnt vmcnt(4)
	v_pk_mul_f32 v[100:101], v[22:23], v[0:1] op_sel:[1,0]
	v_pk_mul_f32 v[52:53], v[24:25], v[2:3] op_sel:[1,0]
	v_pk_fma_f32 v[102:103], v[22:23], v[0:1], v[100:101] op_sel:[0,0,1] op_sel_hi:[1,1,0] neg_lo:[0,0,1] neg_hi:[0,0,1]
	v_pk_fma_f32 v[22:23], v[22:23], v[0:1], v[100:101] op_sel:[0,0,1] op_sel_hi:[0,1,0]
	s_waitcnt vmcnt(0)
	v_pk_mul_f32 v[46:47], v[46:47], v[18:19] op_sel_hi:[0,1]
	v_pk_mul_f32 v[44:45], v[44:45], v[16:17] op_sel_hi:[0,1]
	v_pk_fma_f32 v[98:99], v[40:41], v[18:19], v[46:47] op_sel:[0,0,1] op_sel_hi:[1,1,0] neg_lo:[0,0,1] neg_hi:[0,0,1]
	v_pk_fma_f32 v[40:41], v[40:41], v[18:19], v[46:47] op_sel:[0,0,1] op_sel_hi:[0,1,0]
	v_pk_mul_f32 v[78:79], v[26:27], v[8:9] op_sel:[1,0]
	v_pk_mul_f32 v[80:81], v[28:29], v[10:11] op_sel:[1,0]
	;; [unrolled: 1-line block ×5, first 2 shown]
	v_pk_mul_f32 v[42:43], v[42:43], v[14:15] op_sel_hi:[0,1]
	v_pk_fma_f32 v[54:55], v[24:25], v[2:3], v[52:53] op_sel:[0,0,1] op_sel_hi:[1,1,0] neg_lo:[0,0,1] neg_hi:[0,0,1]
	v_pk_fma_f32 v[24:25], v[24:25], v[2:3], v[52:53] op_sel:[0,0,1] op_sel_hi:[0,1,0]
	v_pk_fma_f32 v[96:97], v[38:39], v[16:17], v[44:45] op_sel:[0,0,1] op_sel_hi:[1,1,0] neg_lo:[0,0,1] neg_hi:[0,0,1]
	v_pk_fma_f32 v[38:39], v[38:39], v[16:17], v[44:45] op_sel:[0,0,1] op_sel_hi:[0,1,0]
	v_mov_b32_e32 v103, v23
	v_mov_b32_e32 v99, v41
	v_pk_fma_f32 v[84:85], v[26:27], v[8:9], v[78:79] op_sel:[0,0,1] op_sel_hi:[1,1,0] neg_lo:[0,0,1] neg_hi:[0,0,1]
	v_pk_fma_f32 v[26:27], v[26:27], v[8:9], v[78:79] op_sel:[0,0,1] op_sel_hi:[0,1,0]
	v_pk_fma_f32 v[86:87], v[28:29], v[10:11], v[80:81] op_sel:[0,0,1] op_sel_hi:[1,1,0] neg_lo:[0,0,1] neg_hi:[0,0,1]
	v_pk_fma_f32 v[28:29], v[28:29], v[10:11], v[80:81] op_sel:[0,0,1] op_sel_hi:[0,1,0]
	;; [unrolled: 2-line block ×6, first 2 shown]
	v_mov_b32_e32 v55, v25
	v_mov_b32_e32 v97, v39
	v_pk_add_f32 v[104:105], v[102:103], v[98:99] neg_lo:[0,1] neg_hi:[0,1]
	v_mov_b32_e32 v85, v27
	v_mov_b32_e32 v87, v29
	;; [unrolled: 1-line block ×4, first 2 shown]
	v_pk_add_f32 v[28:29], v[102:103], v[98:99]
	v_pk_add_f32 v[106:107], v[54:55], v[96:97] neg_lo:[0,1] neg_hi:[0,1]
	v_pk_mul_f32 v[30:31], v[104:105], s[16:17] op_sel:[1,0] op_sel_hi:[0,0]
	v_mov_b32_e32 v91, v33
	v_mov_b32_e32 v93, v35
	v_pk_add_f32 v[26:27], v[54:55], v[96:97]
	v_pk_add_f32 v[108:109], v[84:85], v[94:95] neg_lo:[0,1] neg_hi:[0,1]
	v_pk_mul_f32 v[32:33], v[106:107], s[30:31] op_sel:[1,0] op_sel_hi:[0,0]
	v_pk_fma_f32 v[80:81], v[28:29], s[6:7], v[30:31] op_sel_hi:[1,0,1]
	v_pk_fma_f32 v[82:83], v[28:29], s[6:7], v[30:31] op_sel_hi:[1,0,1] neg_lo:[0,0,1] neg_hi:[0,0,1]
	v_pk_add_f32 v[24:25], v[84:85], v[94:95]
	v_pk_add_f32 v[110:111], v[86:87], v[92:93] neg_lo:[0,1] neg_hi:[0,1]
	v_pk_mul_f32 v[34:35], v[108:109], s[22:23] op_sel:[1,0] op_sel_hi:[0,0]
	v_pk_fma_f32 v[46:47], v[26:27], s[20:21], v[32:33] op_sel_hi:[1,0,1]
	v_pk_fma_f32 v[52:53], v[26:27], s[20:21], v[32:33] op_sel_hi:[1,0,1] neg_lo:[0,0,1] neg_hi:[0,0,1]
	v_mov_b32_e32 v30, v80
	v_mov_b32_e32 v31, v83
	v_pk_add_f32 v[22:23], v[86:87], v[92:93]
	v_pk_mul_f32 v[38:39], v[110:111], s[34:35] op_sel:[1,0] op_sel_hi:[0,0]
	v_pk_fma_f32 v[40:41], v[24:25], s[18:19], v[34:35] op_sel_hi:[1,0,1]
	v_pk_fma_f32 v[42:43], v[24:25], s[18:19], v[34:35] op_sel_hi:[1,0,1] neg_lo:[0,0,1] neg_hi:[0,0,1]
	v_mov_b32_e32 v32, v46
	v_mov_b32_e32 v33, v53
	v_pk_add_f32 v[30:31], v[20:21], v[30:31]
	v_pk_fma_f32 v[36:37], v[22:23], s[24:25], v[38:39] op_sel_hi:[1,0,1]
	v_pk_fma_f32 v[38:39], v[22:23], s[24:25], v[38:39] op_sel_hi:[1,0,1] neg_lo:[0,0,1] neg_hi:[0,0,1]
	v_mov_b32_e32 v34, v40
	v_mov_b32_e32 v35, v43
	v_pk_add_f32 v[30:31], v[32:33], v[30:31]
	v_mov_b32_e32 v44, v36
	v_mov_b32_e32 v45, v39
	v_pk_add_f32 v[30:31], v[34:35], v[30:31]
	v_pk_mul_f32 v[34:35], v[106:107], s[28:29] op_sel:[1,0] op_sel_hi:[0,0]
	v_pk_add_f32 v[32:33], v[44:45], v[30:31]
	v_pk_mul_f32 v[30:31], v[104:105], s[36:37] op_sel:[1,0] op_sel_hi:[0,0]
	v_pk_fma_f32 v[112:113], v[28:29], s[18:19], v[30:31] op_sel_hi:[1,0,1]
	v_pk_fma_f32 v[114:115], v[28:29], s[18:19], v[30:31] op_sel_hi:[1,0,1] neg_lo:[0,0,1] neg_hi:[0,0,1]
	v_mov_b32_e32 v30, v112
	v_mov_b32_e32 v31, v115
	v_pk_fma_f32 v[116:117], v[26:27], s[26:27], v[34:35] op_sel_hi:[1,0,1]
	v_pk_fma_f32 v[118:119], v[26:27], s[26:27], v[34:35] op_sel_hi:[1,0,1] neg_lo:[0,0,1] neg_hi:[0,0,1]
	v_pk_add_f32 v[30:31], v[20:21], v[30:31]
	v_mov_b32_e32 v34, v116
	v_mov_b32_e32 v35, v119
	v_pk_add_f32 v[30:31], v[34:35], v[30:31]
	v_pk_mul_f32 v[34:35], v[108:109], s[30:31] op_sel:[1,0] op_sel_hi:[0,0]
	v_pk_fma_f32 v[120:121], v[24:25], s[20:21], v[34:35] op_sel_hi:[1,0,1]
	v_pk_fma_f32 v[122:123], v[24:25], s[20:21], v[34:35] op_sel_hi:[1,0,1] neg_lo:[0,0,1] neg_hi:[0,0,1]
	v_mov_b32_e32 v34, v120
	v_mov_b32_e32 v35, v123
	v_pk_add_f32 v[30:31], v[34:35], v[30:31]
	v_pk_mul_f32 v[34:35], v[110:111], s[38:39] op_sel:[1,0] op_sel_hi:[0,0]
	v_pk_fma_f32 v[128:129], v[22:23], s[6:7], v[34:35] op_sel_hi:[1,0,1]
	v_pk_fma_f32 v[130:131], v[22:23], s[6:7], v[34:35] op_sel_hi:[1,0,1] neg_lo:[0,0,1] neg_hi:[0,0,1]
	v_mov_b32_e32 v34, v128
	v_mov_b32_e32 v35, v131
	s_mov_b32 s30, 0x3f0a6770
	v_pk_add_f32 v[158:159], v[88:89], v[90:91] neg_lo:[0,1] neg_hi:[0,1]
	v_pk_add_f32 v[34:35], v[34:35], v[30:31]
	v_pk_add_f32 v[30:31], v[88:89], v[90:91]
	v_pk_mul_f32 v[44:45], v[158:159], s[30:31] op_sel:[1,0] op_sel_hi:[0,0]
	v_pk_fma_f32 v[132:133], v[30:31], s[24:25], v[44:45] op_sel_hi:[1,0,1]
	v_pk_fma_f32 v[134:135], v[30:31], s[24:25], v[44:45] op_sel_hi:[1,0,1] neg_lo:[0,0,1] neg_hi:[0,0,1]
	v_mov_b32_e32 v44, v132
	v_mov_b32_e32 v45, v135
	v_pk_add_f32 v[34:35], v[44:45], v[34:35]
	v_pk_mul_f32 v[44:45], v[158:159], s[28:29] op_sel:[1,0] op_sel_hi:[0,0]
	v_pk_fma_f32 v[124:125], v[30:31], s[26:27], v[44:45] op_sel_hi:[1,0,1]
	v_pk_fma_f32 v[126:127], v[30:31], s[26:27], v[44:45] op_sel_hi:[1,0,1] neg_lo:[0,0,1] neg_hi:[0,0,1]
	v_mov_b32_e32 v44, v124
	v_mov_b32_e32 v45, v127
	v_pk_add_f32 v[32:33], v[44:45], v[32:33]
	v_pk_mul_f32 v[44:45], v[104:105], s[34:35] op_sel:[1,0] op_sel_hi:[0,0]
	v_pk_fma_f32 v[156:157], v[28:29], s[24:25], v[44:45] op_sel_hi:[1,0,1]
	v_pk_fma_f32 v[160:161], v[28:29], s[24:25], v[44:45] op_sel_hi:[1,0,1] neg_lo:[0,0,1] neg_hi:[0,0,1]
	v_pk_mul_f32 v[78:79], v[106:107], s[36:37] op_sel:[1,0] op_sel_hi:[0,0]
	v_mov_b32_e32 v44, v156
	v_mov_b32_e32 v45, v161
	v_pk_fma_f32 v[162:163], v[26:27], s[18:19], v[78:79] op_sel_hi:[1,0,1]
	v_pk_fma_f32 v[164:165], v[26:27], s[18:19], v[78:79] op_sel_hi:[1,0,1] neg_lo:[0,0,1] neg_hi:[0,0,1]
	v_pk_add_f32 v[44:45], v[20:21], v[44:45]
	v_mov_b32_e32 v78, v162
	v_mov_b32_e32 v79, v165
	v_pk_add_f32 v[44:45], v[78:79], v[44:45]
	v_pk_mul_f32 v[78:79], v[108:109], s[16:17] op_sel:[1,0] op_sel_hi:[0,0]
	v_pk_fma_f32 v[166:167], v[24:25], s[6:7], v[78:79] op_sel_hi:[1,0,1]
	v_pk_fma_f32 v[168:169], v[24:25], s[6:7], v[78:79] op_sel_hi:[1,0,1] neg_lo:[0,0,1] neg_hi:[0,0,1]
	v_mov_b32_e32 v78, v166
	v_mov_b32_e32 v79, v169
	v_pk_add_f32 v[44:45], v[78:79], v[44:45]
	v_pk_mul_f32 v[78:79], v[110:111], s[28:29] op_sel:[1,0] op_sel_hi:[0,0]
	v_pk_fma_f32 v[170:171], v[22:23], s[26:27], v[78:79] op_sel_hi:[1,0,1]
	v_pk_fma_f32 v[172:173], v[22:23], s[26:27], v[78:79] op_sel_hi:[1,0,1] neg_lo:[0,0,1] neg_hi:[0,0,1]
	v_mov_b32_e32 v78, v170
	v_mov_b32_e32 v79, v173
	s_mov_b32 s36, 0xbe903f40
	v_pk_add_f32 v[44:45], v[78:79], v[44:45]
	v_pk_mul_f32 v[78:79], v[158:159], s[36:37] op_sel:[1,0] op_sel_hi:[0,0]
	v_pk_fma_f32 v[174:175], v[30:31], s[20:21], v[78:79] op_sel_hi:[1,0,1]
	v_pk_fma_f32 v[176:177], v[30:31], s[20:21], v[78:79] op_sel_hi:[1,0,1] neg_lo:[0,0,1] neg_hi:[0,0,1]
	v_mov_b32_e32 v78, v174
	v_mov_b32_e32 v79, v177
	v_pk_add_f32 v[78:79], v[78:79], v[44:45]
	v_pk_mul_f32 v[44:45], v[104:105], s[28:29] op_sel:[1,0] op_sel_hi:[0,0]
	v_pk_fma_f32 v[136:137], v[28:29], s[26:27], v[44:45] op_sel_hi:[1,0,1]
	v_pk_fma_f32 v[138:139], v[28:29], s[26:27], v[44:45] op_sel_hi:[1,0,1] neg_lo:[0,0,1] neg_hi:[0,0,1]
	v_pk_mul_f32 v[100:101], v[106:107], s[38:39] op_sel:[1,0] op_sel_hi:[0,0]
	v_mov_b32_e32 v44, v136
	v_mov_b32_e32 v45, v139
	v_pk_fma_f32 v[140:141], v[26:27], s[6:7], v[100:101] op_sel_hi:[1,0,1]
	v_pk_fma_f32 v[142:143], v[26:27], s[6:7], v[100:101] op_sel_hi:[1,0,1] neg_lo:[0,0,1] neg_hi:[0,0,1]
	v_pk_add_f32 v[44:45], v[20:21], v[44:45]
	v_mov_b32_e32 v100, v140
	v_mov_b32_e32 v101, v143
	v_pk_add_f32 v[44:45], v[100:101], v[44:45]
	v_pk_mul_f32 v[100:101], v[108:109], s[34:35] op_sel:[1,0] op_sel_hi:[0,0]
	v_pk_fma_f32 v[144:145], v[24:25], s[24:25], v[100:101] op_sel_hi:[1,0,1]
	v_pk_fma_f32 v[146:147], v[24:25], s[24:25], v[100:101] op_sel_hi:[1,0,1] neg_lo:[0,0,1] neg_hi:[0,0,1]
	v_mov_b32_e32 v100, v144
	v_mov_b32_e32 v101, v147
	v_pk_add_f32 v[44:45], v[100:101], v[44:45]
	v_pk_mul_f32 v[100:101], v[110:111], s[36:37] op_sel:[1,0] op_sel_hi:[0,0]
	v_pk_fma_f32 v[148:149], v[22:23], s[20:21], v[100:101] op_sel_hi:[1,0,1]
	v_pk_fma_f32 v[150:151], v[22:23], s[20:21], v[100:101] op_sel_hi:[1,0,1] neg_lo:[0,0,1] neg_hi:[0,0,1]
	;; [unrolled: 6-line block ×3, first 2 shown]
	v_mov_b32_e32 v100, v152
	v_mov_b32_e32 v101, v155
	v_pk_add_f32 v[44:45], v[100:101], v[44:45]
	v_lshrrev_b32_e32 v112, 4, v60
	v_mov_b32_e32 v101, 0
	s_and_saveexec_b64 s[34:35], s[2:3]
	s_cbranch_execz .LBB0_23
; %bb.22:
	v_pk_add_f32 v[102:103], v[20:21], v[102:103]
	v_mov_b32_e32 v161, v157
	v_pk_add_f32 v[54:55], v[102:103], v[54:55]
	v_mov_b32_e32 v165, v163
	v_pk_add_f32 v[54:55], v[54:55], v[84:85]
	v_pk_add_f32 v[84:85], v[20:21], v[160:161]
	;; [unrolled: 1-line block ×5, first 2 shown]
	v_mov_b32_e32 v169, v167
	v_pk_add_f32 v[54:55], v[54:55], v[90:91]
	v_mul_u32_u24_e32 v36, 0xb0, v112
	v_pk_add_f32 v[54:55], v[54:55], v[92:93]
	v_pk_add_f32 v[84:85], v[168:169], v[84:85]
	;; [unrolled: 1-line block ×3, first 2 shown]
	v_mov_b32_e32 v173, v171
	v_or_b32_e32 v36, v36, v189
	v_pk_add_f32 v[54:55], v[54:55], v[96:97]
	v_pk_add_f32 v[84:85], v[172:173], v[84:85]
	v_mov_b32_e32 v177, v175
	v_lshlrev_b32_e32 v100, 3, v36
	v_pk_add_f32 v[54:55], v[54:55], v[98:99]
	v_pk_add_f32 v[84:85], v[176:177], v[84:85]
	v_mov_b32_e32 v115, v113
	v_mov_b32_e32 v83, v81
	ds_write2_b64 v100, v[54:55], v[84:85] offset1:16
	v_pk_add_f32 v[54:55], v[20:21], v[114:115]
	v_mov_b32_e32 v119, v117
	v_pk_add_f32 v[80:81], v[20:21], v[82:83]
	v_mov_b32_e32 v53, v47
	;; [unrolled: 2-line block ×6, first 2 shown]
	v_mov_b32_e32 v194, v105
	v_mov_b32_e32 v195, v104
	v_pk_add_f32 v[54:55], v[130:131], v[54:55]
	v_mov_b32_e32 v135, v133
	v_pk_add_f32 v[36:37], v[38:39], v[40:41]
	v_mov_b32_e32 v127, v125
	v_mov_b32_e32 v104, v107
	;; [unrolled: 1-line block ×3, first 2 shown]
	v_pk_add_f32 v[54:55], v[134:135], v[54:55]
	v_pk_add_f32 v[36:37], v[126:127], v[36:37]
	v_pk_mul_f32 v[38:39], v[194:195], s[36:37] op_sel_hi:[1,0]
	ds_write2_b64 v100, v[54:55], v[36:37] offset0:32 offset1:48
	v_pk_mul_f32 v[40:41], v[104:105], s[30:31] op_sel_hi:[1,0]
	v_pk_fma_f32 v[54:55], v[28:29], s[20:21], v[38:39] op_sel_hi:[1,0,1] neg_lo:[0,0,1] neg_hi:[0,0,1]
	v_pk_fma_f32 v[28:29], v[28:29], s[20:21], v[38:39] op_sel_hi:[1,0,1]
	v_mov_b32_e32 v106, v109
	v_mov_b32_e32 v107, v108
	;; [unrolled: 1-line block ×4, first 2 shown]
	v_pk_fma_f32 v[80:81], v[26:27], s[24:25], v[40:41] op_sel_hi:[1,0,1] neg_lo:[0,0,1] neg_hi:[0,0,1]
	v_pk_fma_f32 v[26:27], v[26:27], s[24:25], v[40:41] op_sel_hi:[1,0,1]
	v_pk_mul_f32 v[42:43], v[106:107], s[28:29] op_sel_hi:[1,0]
	v_pk_add_f32 v[38:39], v[20:21], v[38:39]
	v_mov_b32_e32 v40, v80
	v_mov_b32_e32 v41, v27
	;; [unrolled: 1-line block ×4, first 2 shown]
	v_pk_add_f32 v[38:39], v[40:41], v[38:39]
	v_pk_fma_f32 v[40:41], v[24:25], s[26:27], v[42:43] op_sel_hi:[1,0,1] neg_lo:[0,0,1] neg_hi:[0,0,1]
	v_pk_fma_f32 v[24:25], v[24:25], s[26:27], v[42:43] op_sel_hi:[1,0,1]
	v_mov_b32_e32 v139, v137
	v_pk_mul_f32 v[46:47], v[108:109], s[22:23] op_sel_hi:[1,0]
	v_mov_b32_e32 v42, v40
	v_mov_b32_e32 v43, v25
	;; [unrolled: 1-line block ×5, first 2 shown]
	v_pk_add_f32 v[36:37], v[20:21], v[138:139]
	v_mov_b32_e32 v143, v141
	v_pk_add_f32 v[38:39], v[42:43], v[38:39]
	v_pk_fma_f32 v[42:43], v[22:23], s[18:19], v[46:47] op_sel_hi:[1,0,1] neg_lo:[0,0,1] neg_hi:[0,0,1]
	v_pk_fma_f32 v[22:23], v[22:23], s[18:19], v[46:47] op_sel_hi:[1,0,1]
	v_pk_add_f32 v[20:21], v[20:21], v[28:29]
	v_mov_b32_e32 v27, v81
	v_pk_add_f32 v[36:37], v[142:143], v[36:37]
	v_mov_b32_e32 v147, v145
	v_pk_mul_f32 v[52:53], v[110:111], s[16:17] op_sel_hi:[1,0]
	v_mov_b32_e32 v46, v42
	v_mov_b32_e32 v47, v23
	v_pk_add_f32 v[20:21], v[26:27], v[20:21]
	v_mov_b32_e32 v25, v41
	v_pk_add_f32 v[36:37], v[146:147], v[36:37]
	;; [unrolled: 2-line block ×3, first 2 shown]
	v_pk_fma_f32 v[46:47], v[30:31], s[6:7], v[52:53] op_sel_hi:[1,0,1] neg_lo:[0,0,1] neg_hi:[0,0,1]
	v_pk_fma_f32 v[30:31], v[30:31], s[6:7], v[52:53] op_sel_hi:[1,0,1]
	v_pk_add_f32 v[20:21], v[24:25], v[20:21]
	v_mov_b32_e32 v23, v43
	v_pk_add_f32 v[36:37], v[150:151], v[36:37]
	v_mov_b32_e32 v155, v153
	v_mov_b32_e32 v52, v46
	;; [unrolled: 1-line block ×3, first 2 shown]
	v_pk_add_f32 v[20:21], v[22:23], v[20:21]
	v_mov_b32_e32 v31, v47
	v_pk_add_f32 v[36:37], v[154:155], v[36:37]
	v_pk_add_f32 v[38:39], v[52:53], v[38:39]
	;; [unrolled: 1-line block ×3, first 2 shown]
	ds_write2_b64 v100, v[36:37], v[38:39] offset0:64 offset1:80
	ds_write2_b64 v100, v[20:21], v[44:45] offset0:96 offset1:112
	;; [unrolled: 1-line block ×3, first 2 shown]
	ds_write_b64 v100, v[78:79] offset:1280
.LBB0_23:
	s_or_b64 exec, exec, s[34:35]
	v_mad_u64_u32 v[36:37], s[0:1], v60, 48, s[0:1]
	s_waitcnt lgkmcnt(0)
	s_barrier
	global_load_dwordx4 v[24:27], v[36:37], off offset:1392
	global_load_dwordx4 v[20:23], v[36:37], off offset:1424
	;; [unrolled: 1-line block ×3, first 2 shown]
	v_add_u32_e32 v113, 0xa00, v56
	ds_read2_b64 v[38:41], v56 offset1:176
	v_add_u32_e32 v116, 0x1400, v56
	ds_read_b64 v[42:43], v56 offset:8448
	ds_read2_b64 v[52:55], v113 offset0:32 offset1:208
	ds_read2_b64 v[80:83], v116 offset0:64 offset1:240
	v_lshlrev_b32_e32 v100, 3, v60
	v_lshl_add_u64 v[36:37], s[14:15], 0, v[100:101]
	s_waitcnt lgkmcnt(3)
	v_mov_b32_e32 v84, v41
	s_waitcnt lgkmcnt(2)
	v_mov_b32_e32 v88, v43
	;; [unrolled: 2-line block ×3, first 2 shown]
	v_mov_b32_e32 v92, v55
	v_mov_b32_e32 v93, v52
	s_waitcnt lgkmcnt(0)
	v_mov_b32_e32 v96, v81
	v_mov_b32_e32 v97, v82
	;; [unrolled: 1-line block ×11, first 2 shown]
	s_mov_b32 s16, 0x3eae86e6
	s_mov_b32 s6, 0x3d64c772
	;; [unrolled: 1-line block ×9, first 2 shown]
	s_waitcnt vmcnt(2)
	v_mov_b32_e32 v100, v25
	v_mov_b32_e32 v105, v27
	s_waitcnt vmcnt(0)
	v_mov_b32_e32 v101, v29
	v_mov_b32_e32 v104, v29
	;; [unrolled: 1-line block ×14, first 2 shown]
	v_pk_mul_f32 v[84:85], v[84:85], v[100:101]
	v_pk_mul_f32 v[92:93], v[92:93], v[104:105]
	;; [unrolled: 1-line block ×4, first 2 shown]
	v_mul_f32_e32 v40, v40, v25
	v_mul_f32_e32 v53, v53, v27
	v_mul_f32_e32 v83, v83, v21
	v_mul_f32_e32 v42, v42, v23
	v_pk_fma_f32 v[108:109], v[46:47], v[98:99], v[84:85] neg_lo:[0,0,1] neg_hi:[0,0,1]
	v_pk_fma_f32 v[46:47], v[46:47], v[98:99], v[84:85]
	v_pk_fma_f32 v[54:55], v[54:55], v[28:29], v[92:93] neg_lo:[0,0,1] neg_hi:[0,0,1]
	v_pk_fma_f32 v[84:85], v[90:91], v[102:103], v[92:93]
	v_pk_fma_f32 v[80:81], v[80:81], v[30:31], v[96:97] neg_lo:[0,0,1] neg_hi:[0,0,1]
	v_pk_fma_f32 v[90:91], v[94:95], v[106:107], v[96:97]
	v_pk_fma_f32 v[92:93], v[86:87], v[110:111], v[88:89] neg_lo:[0,0,1] neg_hi:[0,0,1]
	v_pk_fma_f32 v[86:87], v[86:87], v[110:111], v[88:89]
	v_fmac_f32_e32 v40, v41, v24
	v_fma_f32 v53, v52, v26, -v53
	v_fma_f32 v83, v82, v20, -v83
	v_fmac_f32_e32 v42, v43, v22
	v_mov_b32_e32 v109, v47
	v_mov_b32_e32 v55, v85
	;; [unrolled: 1-line block ×12, first 2 shown]
	v_add_f32_e32 v101, v40, v42
	v_add_f32_e32 v104, v53, v83
	v_pk_add_f32 v[40:41], v[40:41], v[42:43] neg_lo:[0,1] neg_hi:[0,1]
	v_pk_add_f32 v[42:43], v[52:53], v[82:83] neg_lo:[0,1] neg_hi:[0,1]
	v_pk_add_f32 v[52:53], v[54:55], v[80:81]
	v_pk_add_f32 v[54:55], v[108:109], v[92:93]
	v_pk_add_f32 v[46:47], v[84:85], v[46:47] neg_lo:[0,1] neg_hi:[0,1]
	v_add_f32_e32 v80, v104, v54
	v_add_f32_e32 v83, v53, v101
	v_mov_b32_e32 v100, v52
	v_mov_b32_e32 v105, v55
	;; [unrolled: 1-line block ×8, first 2 shown]
	v_pk_add_f32 v[84:85], v[100:101], v[104:105] neg_lo:[0,1] neg_hi:[0,1]
	v_pk_add_f32 v[88:89], v[46:47], v[42:43]
	v_pk_add_f32 v[90:91], v[90:91], v[92:93] neg_lo:[0,1] neg_hi:[0,1]
	v_mov_b32_e32 v92, v40
	v_mov_b32_e32 v47, v43
	v_pk_add_f32 v[80:81], v[80:81], v[82:83]
	v_pk_add_f32 v[86:87], v[54:55], v[52:53] neg_lo:[0,1] neg_hi:[0,1]
	v_pk_add_f32 v[46:47], v[92:93], v[46:47] neg_lo:[0,1] neg_hi:[0,1]
	v_pk_add_f32 v[38:39], v[38:39], v[80:81]
	v_pk_mul_f32 v[84:85], v[84:85], s[6:7]
	v_pk_mul_f32 v[90:91], v[90:91], s[18:19]
	v_pk_add_f32 v[82:83], v[88:89], v[40:41]
	v_pk_mul_f32 v[88:89], v[86:87], s[14:15]
	s_mov_b32 s6, 0x3ee1c552
	v_pk_mul_f32 v[92:93], v[46:47], s[16:17]
	v_pk_fma_f32 v[80:81], v[80:81], s[0:1], v[38:39] op_sel_hi:[1,0,1]
	v_pk_fma_f32 v[86:87], v[86:87], s[14:15], v[84:85]
	v_pk_fma_f32 v[46:47], v[46:47], s[16:17], v[90:91]
	v_pk_add_f32 v[86:87], v[86:87], v[80:81]
	v_pk_fma_f32 v[46:47], v[82:83], s[6:7], v[46:47] op_sel_hi:[1,0,1]
	v_mov_b32_e32 v105, v53
	v_pk_add_f32 v[94:95], v[86:87], v[46:47] neg_lo:[0,1] neg_hi:[0,1]
	v_pk_add_f32 v[86:87], v[86:87], v[46:47]
	v_mov_b32_e32 v55, v101
	v_mov_b32_e32 v47, v87
	;; [unrolled: 1-line block ×3, first 2 shown]
	ds_write2_b64 v56, v[38:39], v[86:87] offset1:176
	v_pk_add_f32 v[38:39], v[104:105], v[54:55] neg_lo:[0,1] neg_hi:[0,1]
	v_pk_add_f32 v[40:41], v[42:43], v[40:41] neg_lo:[0,1] neg_hi:[0,1]
	s_mov_b32 s0, 0x3f3bfb3b
	s_mov_b32 s14, 0x3f5ff5aa
	v_mov_b32_e32 v42, v84
	v_mov_b32_e32 v43, v89
	;; [unrolled: 1-line block ×6, first 2 shown]
	v_pk_fma_f32 v[42:43], v[38:39], s[0:1], v[42:43] op_sel_hi:[1,0,1] neg_lo:[0,0,1] neg_hi:[0,0,1]
	v_pk_fma_f32 v[52:53], v[40:41], s[14:15], v[52:53] op_sel_hi:[1,0,1] neg_lo:[0,0,1] neg_hi:[0,0,1]
	;; [unrolled: 1-line block ×4, first 2 shown]
	v_pk_add_f32 v[42:43], v[42:43], v[80:81]
	v_pk_fma_f32 v[52:53], v[82:83], s[6:7], v[52:53] op_sel_hi:[1,0,1]
	v_pk_add_f32 v[38:39], v[38:39], v[80:81]
	v_pk_fma_f32 v[40:41], v[82:83], s[6:7], v[40:41] op_sel_hi:[1,0,1]
	v_pk_add_f32 v[54:55], v[42:43], v[52:53] neg_lo:[0,1] neg_hi:[0,1]
	v_pk_add_f32 v[42:43], v[42:43], v[52:53]
	v_pk_add_f32 v[52:53], v[38:39], v[40:41] neg_lo:[0,1] neg_hi:[0,1]
	v_pk_add_f32 v[38:39], v[38:39], v[40:41]
	s_movk_i32 s0, 0x2000
	v_mov_b32_e32 v40, v38
	v_add_co_u32_e32 v38, vcc, s0, v36
	v_mov_b32_e32 v41, v53
	v_mov_b32_e32 v80, v54
	;; [unrolled: 1-line block ×5, first 2 shown]
	v_addc_co_u32_e32 v39, vcc, 0, v37, vcc
	v_mov_b32_e32 v46, v94
	ds_write2_b64 v113, v[40:41], v[80:81] offset0:32 offset1:208
	ds_write2_b64 v116, v[42:43], v[52:53] offset0:64 offset1:240
	ds_write_b64 v56, v[46:47] offset:8448
	s_waitcnt lgkmcnt(0)
	s_barrier
	global_load_dwordx2 v[52:53], v[38:39], off offset:1664
	s_movk_i32 s0, 0x3000
	v_add_co_u32_e32 v40, vcc, s0, v36
	s_mov_b64 s[0:1], 0x2680
	s_nop 0
	v_addc_co_u32_e32 v41, vcc, 0, v37, vcc
	global_load_dwordx2 v[80:81], v[40:41], off offset:2496
	v_lshl_add_u64 v[38:39], v[36:37], 0, s[0:1]
	global_load_dwordx2 v[82:83], v[38:39], off offset:1408
	global_load_dwordx2 v[84:85], v[40:41], off offset:3904
	global_load_dwordx2 v[86:87], v[38:39], off offset:2816
	v_add_co_u32_e32 v36, vcc, 0x4000, v36
	ds_read2_b64 v[40:43], v56 offset1:176
	s_nop 0
	v_addc_co_u32_e32 v37, vcc, 0, v37, vcc
	global_load_dwordx2 v[88:89], v[36:37], off offset:1216
	s_waitcnt vmcnt(5) lgkmcnt(0)
	v_mul_f32_e32 v36, v41, v53
	v_mul_f32_e32 v37, v40, v53
	v_fma_f32 v36, v40, v52, -v36
	v_fmac_f32_e32 v37, v41, v52
	ds_write_b64 v56, v[36:37]
	v_add_u32_e32 v36, 0x1200, v56
	ds_read2_b64 v[52:55], v36 offset0:40 offset1:216
	s_waitcnt vmcnt(4) lgkmcnt(0)
	v_mul_f32_e32 v37, v53, v81
	v_mul_f32_e32 v41, v52, v81
	v_fma_f32 v40, v52, v80, -v37
	v_fmac_f32_e32 v41, v53, v80
	s_waitcnt vmcnt(3)
	v_mul_f32_e32 v37, v43, v83
	v_mul_f32_e32 v53, v42, v83
	v_fma_f32 v52, v42, v82, -v37
	v_fmac_f32_e32 v53, v43, v82
	s_waitcnt vmcnt(2)
	v_mul_f32_e32 v37, v55, v85
	ds_read_b64 v[80:81], v56 offset:2816
	v_mul_f32_e32 v43, v54, v85
	v_fma_f32 v42, v54, v84, -v37
	v_fmac_f32_e32 v43, v55, v84
	ds_write2_b64 v36, v[40:41], v[42:43] offset0:40 offset1:216
	ds_read_b64 v[40:41], v56 offset:7744
	s_waitcnt vmcnt(1) lgkmcnt(2)
	v_mul_f32_e32 v37, v81, v87
	v_mul_f32_e32 v43, v80, v87
	v_fma_f32 v42, v80, v86, -v37
	v_fmac_f32_e32 v43, v81, v86
	v_add_u32_e32 v37, 0x400, v56
	ds_write2_b64 v37, v[52:53], v[42:43] offset0:48 offset1:224
	s_waitcnt vmcnt(0) lgkmcnt(1)
	v_mul_f32_e32 v37, v41, v89
	v_mul_f32_e32 v43, v40, v89
	v_fma_f32 v42, v40, v88, -v37
	v_fmac_f32_e32 v43, v41, v88
	ds_write_b64 v56, v[42:43] offset:7744
	s_and_saveexec_b64 s[0:1], s[4:5]
	s_cbranch_execz .LBB0_25
; %bb.24:
	v_add_co_u32_e32 v40, vcc, 0x1000, v38
	s_nop 1
	v_addc_co_u32_e32 v41, vcc, 0, v39, vcc
	v_add_co_u32_e32 v38, vcc, 0x2000, v38
	global_load_dwordx2 v[40:41], v[40:41], off offset:128
	s_nop 0
	v_addc_co_u32_e32 v39, vcc, 0, v39, vcc
	global_load_dwordx2 v[38:39], v[38:39], off offset:960
	ds_read_b64 v[42:43], v56 offset:4224
	ds_read_b64 v[52:53], v56 offset:9152
	s_waitcnt vmcnt(1) lgkmcnt(1)
	v_mul_f32_e32 v37, v43, v41
	v_mul_f32_e32 v55, v42, v41
	v_fma_f32 v54, v42, v40, -v37
	s_waitcnt vmcnt(0) lgkmcnt(0)
	v_mul_f32_e32 v37, v53, v39
	v_mul_f32_e32 v41, v52, v39
	v_fmac_f32_e32 v55, v43, v40
	v_fma_f32 v40, v52, v38, -v37
	v_fmac_f32_e32 v41, v53, v38
	ds_write_b64 v56, v[54:55] offset:4224
	ds_write_b64 v56, v[40:41] offset:9152
.LBB0_25:
	s_or_b64 exec, exec, s[0:1]
	s_waitcnt lgkmcnt(0)
	s_barrier
	ds_read2_b64 v[40:43], v56 offset1:176
	ds_read2_b64 v[36:39], v36 offset0:40 offset1:216
	ds_read_b64 v[52:53], v56 offset:2816
	ds_read_b64 v[54:55], v56 offset:7744
	v_lshlrev_b32_e32 v81, 3, v186
	v_lshlrev_b32_e32 v80, 3, v188
	s_and_saveexec_b64 s[0:1], s[4:5]
	s_cbranch_execz .LBB0_27
; %bb.26:
	ds_read_b64 v[46:47], v56 offset:4224
	ds_read_b64 v[44:45], v56 offset:9152
.LBB0_27:
	s_or_b64 exec, exec, s[0:1]
	s_waitcnt lgkmcnt(2)
	v_pk_add_f32 v[84:85], v[40:41], v[36:37] neg_lo:[0,1] neg_hi:[0,1]
	v_pk_add_f32 v[86:87], v[42:43], v[38:39] neg_lo:[0,1] neg_hi:[0,1]
	s_waitcnt lgkmcnt(0)
	v_pk_add_f32 v[54:55], v[52:53], v[54:55] neg_lo:[0,1] neg_hi:[0,1]
	v_pk_add_f32 v[38:39], v[46:47], v[44:45] neg_lo:[0,1] neg_hi:[0,1]
	v_pk_fma_f32 v[82:83], v[40:41], 2.0, v[84:85] op_sel_hi:[1,0,1] neg_lo:[0,0,1] neg_hi:[0,0,1]
	v_pk_fma_f32 v[36:37], v[46:47], 2.0, v[38:39] op_sel_hi:[1,0,1] neg_lo:[0,0,1] neg_hi:[0,0,1]
	s_barrier
	ds_write_b128 v179, v[82:85]
	v_pk_fma_f32 v[84:85], v[42:43], 2.0, v[86:87] op_sel_hi:[1,0,1] neg_lo:[0,0,1] neg_hi:[0,0,1]
	v_pk_fma_f32 v[52:53], v[52:53], 2.0, v[54:55] op_sel_hi:[1,0,1] neg_lo:[0,0,1] neg_hi:[0,0,1]
	ds_write_b128 v81, v[84:87]
	ds_write_b128 v80, v[52:55]
	s_and_saveexec_b64 s[0:1], s[4:5]
	s_cbranch_execz .LBB0_29
; %bb.28:
	ds_write_b128 v178, v[36:39]
.LBB0_29:
	s_or_b64 exec, exec, s[0:1]
	v_add_u32_e32 v44, 0x1200, v56
	s_waitcnt lgkmcnt(0)
	s_barrier
	ds_read2_b64 v[40:43], v56 offset1:176
	ds_read2_b64 v[44:47], v44 offset0:40 offset1:216
	ds_read_b64 v[54:55], v56 offset:2816
	ds_read_b64 v[80:81], v56 offset:7744
	v_mov_b32_e32 v82, v48
	v_mov_b32_e32 v83, v48
	;; [unrolled: 1-line block ×4, first 2 shown]
	s_and_saveexec_b64 s[0:1], s[4:5]
	s_cbranch_execz .LBB0_31
; %bb.30:
	ds_read_b64 v[36:37], v56 offset:4224
	ds_read_b64 v[38:39], v56 offset:9152
.LBB0_31:
	s_or_b64 exec, exec, s[0:1]
	s_waitcnt lgkmcnt(0)
	v_pk_mul_f32 v[52:53], v[48:49], v[38:39] op_sel:[0,1]
	s_nop 0
	v_pk_fma_f32 v[86:87], v[48:49], v[38:39], v[52:53] op_sel:[0,0,1] op_sel_hi:[1,1,0]
	v_pk_fma_f32 v[38:39], v[48:49], v[38:39], v[52:53] op_sel:[0,0,1] op_sel_hi:[1,0,0] neg_lo:[1,0,0] neg_hi:[1,0,0]
	s_barrier
	v_mov_b32_e32 v87, v39
	v_pk_add_f32 v[52:53], v[36:37], v[86:87] neg_lo:[0,1] neg_hi:[0,1]
	s_nop 0
	v_pk_fma_f32 v[48:49], v[36:37], 2.0, v[52:53] op_sel_hi:[1,0,1] neg_lo:[0,0,1] neg_hi:[0,0,1]
	v_pk_mul_f32 v[36:37], v[84:85], v[44:45]
	s_nop 0
	v_pk_fma_f32 v[38:39], v[82:83], v[44:45], v[36:37] op_sel:[0,0,1] op_sel_hi:[1,1,0]
	v_pk_fma_f32 v[36:37], v[82:83], v[44:45], v[36:37] op_sel:[0,0,1] op_sel_hi:[1,1,0] neg_lo:[0,0,1] neg_hi:[0,0,1]
	s_nop 0
	v_mov_b32_e32 v39, v37
	v_pk_add_f32 v[36:37], v[40:41], v[38:39] neg_lo:[0,1] neg_hi:[0,1]
	s_nop 0
	v_pk_fma_f32 v[38:39], v[40:41], 2.0, v[36:37] op_sel_hi:[1,0,1] neg_lo:[0,0,1] neg_hi:[0,0,1]
	ds_write2_b64 v183, v[38:39], v[36:37] offset1:2
	v_pk_mul_f32 v[36:37], v[84:85], v[46:47]
	s_nop 0
	v_pk_fma_f32 v[38:39], v[82:83], v[46:47], v[36:37] op_sel:[0,0,1] op_sel_hi:[1,1,0]
	v_pk_fma_f32 v[36:37], v[82:83], v[46:47], v[36:37] op_sel:[0,0,1] op_sel_hi:[1,1,0] neg_lo:[0,0,1] neg_hi:[0,0,1]
	s_nop 0
	v_mov_b32_e32 v39, v37
	v_pk_add_f32 v[36:37], v[42:43], v[38:39] neg_lo:[0,1] neg_hi:[0,1]
	s_nop 0
	v_pk_fma_f32 v[38:39], v[42:43], 2.0, v[36:37] op_sel_hi:[1,0,1] neg_lo:[0,0,1] neg_hi:[0,0,1]
	ds_write2_b64 v181, v[38:39], v[36:37] offset1:2
	;; [unrolled: 10-line block ×3, first 2 shown]
	s_and_saveexec_b64 s[0:1], s[4:5]
	s_cbranch_execz .LBB0_33
; %bb.32:
	s_movk_i32 s6, 0x5fc
	v_and_or_b32 v36, v57, s6, v61
	v_lshlrev_b32_e32 v36, 3, v36
	ds_write2_b64 v36, v[48:49], v[52:53] offset1:2
.LBB0_33:
	s_or_b64 exec, exec, s[0:1]
	v_add_u32_e32 v40, 0x1200, v56
	s_waitcnt lgkmcnt(0)
	s_barrier
	ds_read2_b64 v[36:39], v56 offset1:176
	ds_read2_b64 v[40:43], v40 offset0:40 offset1:216
	ds_read_b64 v[44:45], v56 offset:2816
	ds_read_b64 v[46:47], v56 offset:7744
	v_mov_b32_e32 v54, v50
	v_mov_b32_e32 v55, v50
	;; [unrolled: 1-line block ×4, first 2 shown]
	s_and_saveexec_b64 s[0:1], s[4:5]
	s_cbranch_execz .LBB0_35
; %bb.34:
	ds_read_b64 v[48:49], v56 offset:4224
	ds_read_b64 v[52:53], v56 offset:9152
.LBB0_35:
	s_or_b64 exec, exec, s[0:1]
	s_waitcnt lgkmcnt(0)
	v_pk_mul_f32 v[82:83], v[50:51], v[52:53] op_sel:[0,1]
	s_nop 0
	v_pk_fma_f32 v[84:85], v[50:51], v[52:53], v[82:83] op_sel:[0,0,1] op_sel_hi:[1,1,0]
	v_pk_fma_f32 v[50:51], v[50:51], v[52:53], v[82:83] op_sel:[0,0,1] op_sel_hi:[1,0,0] neg_lo:[1,0,0] neg_hi:[1,0,0]
	v_pk_mul_f32 v[52:53], v[80:81], v[40:41]
	s_barrier
	v_pk_fma_f32 v[82:83], v[54:55], v[40:41], v[52:53] op_sel:[0,0,1] op_sel_hi:[1,1,0]
	v_pk_fma_f32 v[40:41], v[54:55], v[40:41], v[52:53] op_sel:[0,0,1] op_sel_hi:[1,1,0] neg_lo:[0,0,1] neg_hi:[0,0,1]
	s_nop 0
	v_mov_b32_e32 v83, v41
	v_pk_add_f32 v[40:41], v[36:37], v[82:83] neg_lo:[0,1] neg_hi:[0,1]
	v_mov_b32_e32 v85, v51
	v_pk_fma_f32 v[36:37], v[36:37], 2.0, v[40:41] op_sel_hi:[1,0,1] neg_lo:[0,0,1] neg_hi:[0,0,1]
	ds_write2_b64 v187, v[36:37], v[40:41] offset1:4
	v_pk_mul_f32 v[36:37], v[80:81], v[42:43]
	v_pk_add_f32 v[50:51], v[48:49], v[84:85] neg_lo:[0,1] neg_hi:[0,1]
	v_pk_fma_f32 v[40:41], v[54:55], v[42:43], v[36:37] op_sel:[0,0,1] op_sel_hi:[1,1,0]
	v_pk_fma_f32 v[36:37], v[54:55], v[42:43], v[36:37] op_sel:[0,0,1] op_sel_hi:[1,1,0] neg_lo:[0,0,1] neg_hi:[0,0,1]
	v_pk_fma_f32 v[48:49], v[48:49], 2.0, v[50:51] op_sel_hi:[1,0,1] neg_lo:[0,0,1] neg_hi:[0,0,1]
	v_mov_b32_e32 v41, v37
	v_pk_add_f32 v[36:37], v[38:39], v[40:41] neg_lo:[0,1] neg_hi:[0,1]
	s_nop 0
	v_pk_fma_f32 v[38:39], v[38:39], 2.0, v[36:37] op_sel_hi:[1,0,1] neg_lo:[0,0,1] neg_hi:[0,0,1]
	ds_write2_b64 v185, v[38:39], v[36:37] offset1:4
	v_pk_mul_f32 v[36:37], v[80:81], v[46:47]
	s_nop 0
	v_pk_fma_f32 v[38:39], v[54:55], v[46:47], v[36:37] op_sel:[0,0,1] op_sel_hi:[1,1,0]
	v_pk_fma_f32 v[36:37], v[54:55], v[46:47], v[36:37] op_sel:[0,0,1] op_sel_hi:[1,1,0] neg_lo:[0,0,1] neg_hi:[0,0,1]
	s_nop 0
	v_mov_b32_e32 v39, v37
	v_pk_add_f32 v[36:37], v[44:45], v[38:39] neg_lo:[0,1] neg_hi:[0,1]
	s_nop 0
	v_pk_fma_f32 v[38:39], v[44:45], 2.0, v[36:37] op_sel_hi:[1,0,1] neg_lo:[0,0,1] neg_hi:[0,0,1]
	ds_write2_b64 v184, v[38:39], v[36:37] offset1:4
	s_and_saveexec_b64 s[0:1], s[4:5]
	s_cbranch_execz .LBB0_37
; %bb.36:
	s_movk_i32 s6, 0x5f8
	v_and_or_b32 v36, v57, s6, v67
	v_lshlrev_b32_e32 v36, 3, v36
	ds_write2_b64 v36, v[48:49], v[50:51] offset1:4
.LBB0_37:
	s_or_b64 exec, exec, s[0:1]
	v_add_u32_e32 v36, 0x1200, v56
	s_waitcnt lgkmcnt(0)
	s_barrier
	ds_read2_b64 v[52:55], v56 offset1:176
	ds_read2_b64 v[38:41], v36 offset0:40 offset1:216
	ds_read_b64 v[36:37], v56 offset:2816
	ds_read_b64 v[42:43], v56 offset:7744
	v_mov_b32_e32 v80, v76
	v_mov_b32_e32 v81, v76
	;; [unrolled: 1-line block ×4, first 2 shown]
	s_and_saveexec_b64 s[0:1], s[4:5]
	s_cbranch_execz .LBB0_39
; %bb.38:
	ds_read_b64 v[48:49], v56 offset:4224
	ds_read_b64 v[50:51], v56 offset:9152
.LBB0_39:
	s_or_b64 exec, exec, s[0:1]
	s_waitcnt lgkmcnt(2)
	v_pk_mul_f32 v[44:45], v[82:83], v[38:39]
	s_waitcnt lgkmcnt(0)
	v_pk_mul_f32 v[84:85], v[76:77], v[50:51] op_sel:[0,1]
	v_pk_fma_f32 v[46:47], v[80:81], v[38:39], v[44:45] op_sel:[0,0,1] op_sel_hi:[1,1,0]
	v_pk_fma_f32 v[38:39], v[80:81], v[38:39], v[44:45] op_sel:[0,0,1] op_sel_hi:[1,1,0] neg_lo:[0,0,1] neg_hi:[0,0,1]
	v_pk_mul_f32 v[44:45], v[82:83], v[40:41]
	v_mov_b32_e32 v47, v39
	v_pk_add_f32 v[38:39], v[52:53], v[46:47] neg_lo:[0,1] neg_hi:[0,1]
	v_pk_fma_f32 v[46:47], v[80:81], v[40:41], v[44:45] op_sel:[0,0,1] op_sel_hi:[1,1,0]
	v_pk_fma_f32 v[40:41], v[80:81], v[40:41], v[44:45] op_sel:[0,0,1] op_sel_hi:[1,1,0] neg_lo:[0,0,1] neg_hi:[0,0,1]
	s_nop 0
	v_mov_b32_e32 v47, v41
	v_pk_add_f32 v[46:47], v[54:55], v[46:47] neg_lo:[0,1] neg_hi:[0,1]
	v_pk_mul_f32 v[40:41], v[82:83], v[42:43]
	v_pk_fma_f32 v[44:45], v[54:55], 2.0, v[46:47] op_sel_hi:[1,0,1] neg_lo:[0,0,1] neg_hi:[0,0,1]
	v_pk_fma_f32 v[54:55], v[80:81], v[42:43], v[40:41] op_sel:[0,0,1] op_sel_hi:[1,1,0]
	v_pk_fma_f32 v[40:41], v[80:81], v[42:43], v[40:41] op_sel:[0,0,1] op_sel_hi:[1,1,0] neg_lo:[0,0,1] neg_hi:[0,0,1]
	s_barrier
	v_mov_b32_e32 v55, v41
	v_pk_add_f32 v[42:43], v[36:37], v[54:55] neg_lo:[0,1] neg_hi:[0,1]
	s_nop 0
	v_pk_fma_f32 v[40:41], v[36:37], 2.0, v[42:43] op_sel_hi:[1,0,1] neg_lo:[0,0,1] neg_hi:[0,0,1]
	v_pk_fma_f32 v[36:37], v[76:77], v[50:51], v[84:85] op_sel:[0,0,1] op_sel_hi:[1,1,0]
	v_pk_fma_f32 v[50:51], v[76:77], v[50:51], v[84:85] op_sel:[0,0,1] op_sel_hi:[1,0,0] neg_lo:[1,0,0] neg_hi:[1,0,0]
	s_nop 0
	v_mov_b32_e32 v37, v51
	v_pk_add_f32 v[50:51], v[48:49], v[36:37] neg_lo:[0,1] neg_hi:[0,1]
	v_pk_fma_f32 v[36:37], v[52:53], 2.0, v[38:39] op_sel_hi:[1,0,1] neg_lo:[0,0,1] neg_hi:[0,0,1]
	v_pk_fma_f32 v[48:49], v[48:49], 2.0, v[50:51] op_sel_hi:[1,0,1] neg_lo:[0,0,1] neg_hi:[0,0,1]
	ds_write2_b64 v190, v[36:37], v[38:39] offset1:8
	ds_write2_b64 v191, v[44:45], v[46:47] offset1:8
	ds_write2_b64 v192, v[40:41], v[42:43] offset1:8
	s_and_saveexec_b64 s[0:1], s[4:5]
	s_cbranch_execz .LBB0_41
; %bb.40:
	s_movk_i32 s6, 0x5f0
	v_and_or_b32 v52, v57, s6, v182
	v_lshlrev_b32_e32 v52, 3, v52
	ds_write2_b64 v52, v[48:49], v[50:51] offset1:8
.LBB0_41:
	s_or_b64 exec, exec, s[0:1]
	s_waitcnt lgkmcnt(0)
	s_barrier
	s_and_saveexec_b64 s[0:1], s[2:3]
	s_cbranch_execz .LBB0_43
; %bb.42:
	v_add_u32_e32 v32, 0x400, v56
	ds_read2_b64 v[44:47], v32 offset0:96 offset1:208
	v_add_u32_e32 v32, 0xc00, v56
	ds_read2_b64 v[40:43], v32 offset0:64 offset1:176
	;; [unrolled: 2-line block ×3, first 2 shown]
	v_add_u32_e32 v32, 0x1800, v56
	ds_read2_b64 v[36:39], v56 offset1:112
	ds_read2_b64 v[32:35], v32 offset0:128 offset1:240
	ds_read_b64 v[78:79], v56 offset:8960
.LBB0_43:
	s_or_b64 exec, exec, s[0:1]
	s_waitcnt lgkmcnt(0)
	s_barrier
	s_and_saveexec_b64 s[0:1], s[2:3]
	s_cbranch_execz .LBB0_45
; %bb.44:
	v_pk_mul_f32 v[54:55], v[18:19], v[78:79] op_sel:[0,1]
	v_pk_mul_f32 v[80:81], v[16:17], v[34:35] op_sel:[0,1]
	v_pk_fma_f32 v[94:95], v[18:19], v[78:79], v[54:55] op_sel:[0,0,1] op_sel_hi:[1,1,0]
	v_pk_fma_f32 v[18:19], v[18:19], v[78:79], v[54:55] op_sel:[0,0,1] op_sel_hi:[1,0,0] neg_lo:[1,0,0] neg_hi:[1,0,0]
	v_pk_mul_f32 v[76:77], v[2:3], v[44:45] op_sel:[0,1]
	v_mov_b32_e32 v95, v19
	v_pk_fma_f32 v[18:19], v[16:17], v[34:35], v[80:81] op_sel:[0,0,1] op_sel_hi:[1,1,0]
	v_pk_fma_f32 v[16:17], v[16:17], v[34:35], v[80:81] op_sel:[0,0,1] op_sel_hi:[1,0,0] neg_lo:[1,0,0] neg_hi:[1,0,0]
	v_pk_mul_f32 v[84:85], v[14:15], v[32:33] op_sel:[0,1]
	v_mov_b32_e32 v19, v17
	;; [unrolled: 4-line block ×8, first 2 shown]
	v_pk_fma_f32 v[6:7], v[4:5], v[42:43], v[90:91] op_sel:[0,0,1] op_sel_hi:[1,1,0]
	v_pk_fma_f32 v[4:5], v[4:5], v[42:43], v[90:91] op_sel:[0,0,1] op_sel_hi:[1,0,0] neg_lo:[1,0,0] neg_hi:[1,0,0]
	s_mov_b32 s20, 0xbf0a6770
	v_mov_b32_e32 v7, v5
	v_pk_fma_f32 v[4:5], v[0:1], v[38:39], v[52:53] op_sel:[0,0,1] op_sel_hi:[1,1,0]
	v_pk_fma_f32 v[0:1], v[0:1], v[38:39], v[52:53] op_sel:[0,0,1] op_sel_hi:[1,0,0] neg_lo:[1,0,0] neg_hi:[1,0,0]
	v_pk_add_f32 v[34:35], v[16:17], v[18:19] neg_lo:[0,1] neg_hi:[0,1]
	v_mov_b32_e32 v5, v1
	v_pk_add_f32 v[0:1], v[4:5], v[94:95] neg_lo:[0,1] neg_hi:[0,1]
	v_pk_add_f32 v[32:33], v[94:95], v[4:5]
	s_mov_b32 s2, 0x3f575c64
	v_pk_mul_f32 v[52:53], v[0:1], s[20:21] op_sel_hi:[1,0]
	s_mov_b32 s28, 0xbf68dda4
	v_pk_add_f32 v[38:39], v[18:19], v[16:17]
	v_pk_fma_f32 v[54:55], v[32:33], s[2:3], v[52:53] op_sel:[0,0,1] op_sel_hi:[1,0,0]
	v_pk_fma_f32 v[52:53], v[32:33], s[2:3], v[52:53] op_sel:[0,0,1] op_sel_hi:[1,0,0] neg_lo:[0,0,1] neg_hi:[0,0,1]
	s_mov_b32 s6, 0x3ed4b147
	v_pk_mul_f32 v[78:79], v[34:35], s[28:29] op_sel_hi:[1,0]
	v_mov_b32_e32 v76, v54
	v_mov_b32_e32 v77, v53
	v_pk_fma_f32 v[80:81], v[38:39], s[6:7], v[78:79] op_sel:[0,0,1] op_sel_hi:[1,0,0]
	v_pk_fma_f32 v[78:79], v[38:39], s[6:7], v[78:79] op_sel:[0,0,1] op_sel_hi:[1,0,0] neg_lo:[0,0,1] neg_hi:[0,0,1]
	v_pk_add_f32 v[40:41], v[14:15], v[2:3] neg_lo:[0,1] neg_hi:[0,1]
	v_pk_add_f32 v[76:77], v[36:37], v[76:77]
	v_mov_b32_e32 v82, v80
	v_mov_b32_e32 v83, v79
	s_mov_b32 s18, 0xbf7d64f0
	v_pk_add_f32 v[42:43], v[2:3], v[14:15]
	v_pk_add_f32 v[76:77], v[82:83], v[76:77]
	s_mov_b32 s14, 0xbe11bafb
	v_pk_mul_f32 v[82:83], v[40:41], s[18:19] op_sel_hi:[1,0]
	v_pk_add_f32 v[4:5], v[36:37], v[4:5]
	v_pk_fma_f32 v[84:85], v[42:43], s[14:15], v[82:83] op_sel:[0,0,1] op_sel_hi:[1,0,0]
	v_pk_fma_f32 v[82:83], v[42:43], s[14:15], v[82:83] op_sel:[0,0,1] op_sel_hi:[1,0,0] neg_lo:[0,0,1] neg_hi:[0,0,1]
	v_pk_add_f32 v[4:5], v[16:17], v[4:5]
	v_pk_add_f32 v[44:45], v[12:13], v[8:9] neg_lo:[0,1] neg_hi:[0,1]
	v_mov_b32_e32 v86, v84
	v_mov_b32_e32 v87, v83
	s_mov_b32 s22, 0xbf4178ce
	v_pk_add_f32 v[4:5], v[14:15], v[4:5]
	v_pk_add_f32 v[46:47], v[8:9], v[12:13]
	;; [unrolled: 1-line block ×3, first 2 shown]
	s_mov_b32 s16, 0xbf27a4f4
	v_pk_mul_f32 v[86:87], v[44:45], s[22:23] op_sel_hi:[1,0]
	v_pk_add_f32 v[4:5], v[12:13], v[4:5]
	v_pk_fma_f32 v[88:89], v[46:47], s[16:17], v[86:87] op_sel:[0,0,1] op_sel_hi:[1,0,0]
	v_pk_fma_f32 v[86:87], v[46:47], s[16:17], v[86:87] op_sel:[0,0,1] op_sel_hi:[1,0,0] neg_lo:[0,0,1] neg_hi:[0,0,1]
	v_pk_add_f32 v[4:5], v[6:7], v[4:5]
	v_pk_add_f32 v[48:49], v[6:7], v[10:11] neg_lo:[0,1] neg_hi:[0,1]
	v_mov_b32_e32 v90, v88
	v_mov_b32_e32 v91, v87
	s_mov_b32 s26, 0xbe903f40
	v_pk_add_f32 v[4:5], v[10:11], v[4:5]
	v_pk_add_f32 v[50:51], v[10:11], v[6:7]
	;; [unrolled: 1-line block ×3, first 2 shown]
	s_mov_b32 s24, 0xbf75a155
	v_pk_mul_f32 v[90:91], v[48:49], s[26:27] op_sel_hi:[1,0]
	v_pk_add_f32 v[4:5], v[8:9], v[4:5]
	v_mul_u32_u24_e32 v57, 0xb0, v112
	v_pk_fma_f32 v[92:93], v[50:51], s[24:25], v[90:91] op_sel:[0,0,1] op_sel_hi:[1,0,0]
	v_pk_fma_f32 v[90:91], v[50:51], s[24:25], v[90:91] op_sel:[0,0,1] op_sel_hi:[1,0,0] neg_lo:[0,0,1] neg_hi:[0,0,1]
	v_pk_add_f32 v[2:3], v[2:3], v[4:5]
	v_or_b32_e32 v57, v57, v189
	v_mov_b32_e32 v96, v92
	v_mov_b32_e32 v97, v91
	v_pk_add_f32 v[2:3], v[18:19], v[2:3]
	v_lshlrev_b32_e32 v57, 3, v57
	v_pk_add_f32 v[76:77], v[96:97], v[76:77]
	v_pk_add_f32 v[2:3], v[94:95], v[2:3]
	ds_write2_b64 v57, v[2:3], v[76:77] offset1:16
	v_pk_mul_f32 v[2:3], v[0:1], s[28:29] op_sel_hi:[1,0]
	v_pk_mul_f32 v[8:9], v[34:35], s[22:23] op_sel_hi:[1,0]
	v_pk_fma_f32 v[4:5], v[32:33], s[6:7], v[2:3] op_sel:[0,0,1] op_sel_hi:[1,0,0]
	v_pk_fma_f32 v[2:3], v[32:33], s[6:7], v[2:3] op_sel:[0,0,1] op_sel_hi:[1,0,0] neg_lo:[0,0,1] neg_hi:[0,0,1]
	v_mov_b32_e32 v6, v4
	v_mov_b32_e32 v7, v3
	v_pk_fma_f32 v[10:11], v[38:39], s[16:17], v[8:9] op_sel:[0,0,1] op_sel_hi:[1,0,0]
	v_pk_fma_f32 v[8:9], v[38:39], s[16:17], v[8:9] op_sel:[0,0,1] op_sel_hi:[1,0,0] neg_lo:[0,0,1] neg_hi:[0,0,1]
	v_pk_add_f32 v[6:7], v[36:37], v[6:7]
	v_mov_b32_e32 v12, v10
	v_mov_b32_e32 v13, v9
	s_mov_b32 s28, 0x3e903f40
	v_pk_add_f32 v[6:7], v[12:13], v[6:7]
	v_pk_mul_f32 v[12:13], v[40:41], s[28:29] op_sel_hi:[1,0]
	s_mov_b32 s30, 0x3f7d64f0
	v_pk_fma_f32 v[14:15], v[42:43], s[24:25], v[12:13] op_sel:[0,0,1] op_sel_hi:[1,0,0]
	v_pk_fma_f32 v[12:13], v[42:43], s[24:25], v[12:13] op_sel:[0,0,1] op_sel_hi:[1,0,0] neg_lo:[0,0,1] neg_hi:[0,0,1]
	v_mov_b32_e32 v16, v14
	v_mov_b32_e32 v17, v13
	v_pk_add_f32 v[6:7], v[16:17], v[6:7]
	v_pk_mul_f32 v[16:17], v[44:45], s[30:31] op_sel_hi:[1,0]
	s_mov_b32 s34, 0x3f0a6770
	v_pk_fma_f32 v[18:19], v[46:47], s[14:15], v[16:17] op_sel:[0,0,1] op_sel_hi:[1,0,0]
	v_pk_fma_f32 v[16:17], v[46:47], s[14:15], v[16:17] op_sel:[0,0,1] op_sel_hi:[1,0,0] neg_lo:[0,0,1] neg_hi:[0,0,1]
	v_mov_b32_e32 v76, v18
	v_mov_b32_e32 v77, v17
	v_pk_add_f32 v[6:7], v[76:77], v[6:7]
	v_pk_mul_f32 v[76:77], v[48:49], s[34:35] op_sel_hi:[1,0]
	v_pk_mul_f32 v[102:103], v[34:35], s[28:29] op_sel_hi:[1,0]
	v_pk_fma_f32 v[94:95], v[50:51], s[2:3], v[76:77] op_sel:[0,0,1] op_sel_hi:[1,0,0]
	v_pk_fma_f32 v[76:77], v[50:51], s[2:3], v[76:77] op_sel:[0,0,1] op_sel_hi:[1,0,0] neg_lo:[0,0,1] neg_hi:[0,0,1]
	v_mov_b32_e32 v96, v94
	v_mov_b32_e32 v97, v77
	v_pk_add_f32 v[6:7], v[96:97], v[6:7]
	v_pk_mul_f32 v[96:97], v[0:1], s[18:19] op_sel_hi:[1,0]
	v_pk_fma_f32 v[104:105], v[38:39], s[24:25], v[102:103] op_sel:[0,0,1] op_sel_hi:[1,0,0]
	v_pk_fma_f32 v[98:99], v[32:33], s[14:15], v[96:97] op_sel:[0,0,1] op_sel_hi:[1,0,0]
	v_pk_fma_f32 v[96:97], v[32:33], s[14:15], v[96:97] op_sel:[0,0,1] op_sel_hi:[1,0,0] neg_lo:[0,0,1] neg_hi:[0,0,1]
	v_mov_b32_e32 v100, v98
	v_mov_b32_e32 v101, v97
	v_pk_fma_f32 v[102:103], v[38:39], s[24:25], v[102:103] op_sel:[0,0,1] op_sel_hi:[1,0,0] neg_lo:[0,0,1] neg_hi:[0,0,1]
	v_pk_add_f32 v[100:101], v[36:37], v[100:101]
	v_mov_b32_e32 v106, v104
	v_mov_b32_e32 v107, v103
	s_mov_b32 s28, 0x3f68dda4
	v_pk_add_f32 v[100:101], v[106:107], v[100:101]
	v_pk_mul_f32 v[106:107], v[40:41], s[28:29] op_sel_hi:[1,0]
	v_pk_mul_f32 v[120:121], v[34:35], s[30:31] op_sel_hi:[1,0]
	v_pk_fma_f32 v[108:109], v[42:43], s[6:7], v[106:107] op_sel:[0,0,1] op_sel_hi:[1,0,0]
	v_pk_fma_f32 v[106:107], v[42:43], s[6:7], v[106:107] op_sel:[0,0,1] op_sel_hi:[1,0,0] neg_lo:[0,0,1] neg_hi:[0,0,1]
	v_mov_b32_e32 v110, v108
	v_mov_b32_e32 v111, v107
	v_pk_add_f32 v[100:101], v[110:111], v[100:101]
	v_pk_mul_f32 v[110:111], v[44:45], s[20:21] op_sel_hi:[1,0]
	v_pk_fma_f32 v[122:123], v[38:39], s[14:15], v[120:121] op_sel:[0,0,1] op_sel_hi:[1,0,0]
	v_pk_fma_f32 v[112:113], v[46:47], s[2:3], v[110:111] op_sel:[0,0,1] op_sel_hi:[1,0,0]
	v_pk_fma_f32 v[110:111], v[46:47], s[2:3], v[110:111] op_sel:[0,0,1] op_sel_hi:[1,0,0] neg_lo:[0,0,1] neg_hi:[0,0,1]
	v_mov_b32_e32 v114, v112
	v_mov_b32_e32 v115, v111
	v_pk_add_f32 v[100:101], v[114:115], v[100:101]
	v_pk_mul_f32 v[114:115], v[48:49], s[22:23] op_sel_hi:[1,0]
	v_pk_fma_f32 v[120:121], v[38:39], s[14:15], v[120:121] op_sel:[0,0,1] op_sel_hi:[1,0,0] neg_lo:[0,0,1] neg_hi:[0,0,1]
	v_pk_fma_f32 v[116:117], v[50:51], s[16:17], v[114:115] op_sel:[0,0,1] op_sel_hi:[1,0,0]
	v_pk_fma_f32 v[114:115], v[50:51], s[16:17], v[114:115] op_sel:[0,0,1] op_sel_hi:[1,0,0] neg_lo:[0,0,1] neg_hi:[0,0,1]
	v_mov_b32_e32 v118, v116
	v_mov_b32_e32 v119, v115
	v_pk_add_f32 v[100:101], v[118:119], v[100:101]
	ds_write2_b64 v57, v[6:7], v[100:101] offset0:32 offset1:48
	v_pk_mul_f32 v[6:7], v[0:1], s[22:23] op_sel_hi:[1,0]
	v_mov_b32_e32 v124, v122
	v_pk_fma_f32 v[100:101], v[32:33], s[16:17], v[6:7] op_sel:[0,0,1] op_sel_hi:[1,0,0]
	v_pk_fma_f32 v[6:7], v[32:33], s[16:17], v[6:7] op_sel:[0,0,1] op_sel_hi:[1,0,0] neg_lo:[0,0,1] neg_hi:[0,0,1]
	v_mov_b32_e32 v118, v100
	v_mov_b32_e32 v119, v7
	v_pk_add_f32 v[118:119], v[36:37], v[118:119]
	v_mov_b32_e32 v125, v121
	v_pk_add_f32 v[118:119], v[124:125], v[118:119]
	v_pk_mul_f32 v[124:125], v[40:41], s[20:21] op_sel_hi:[1,0]
	v_pk_mul_f32 v[0:1], v[0:1], s[26:27] op_sel_hi:[1,0]
	v_pk_fma_f32 v[126:127], v[42:43], s[2:3], v[124:125] op_sel:[0,0,1] op_sel_hi:[1,0,0]
	v_pk_fma_f32 v[124:125], v[42:43], s[2:3], v[124:125] op_sel:[0,0,1] op_sel_hi:[1,0,0] neg_lo:[0,0,1] neg_hi:[0,0,1]
	v_mov_b32_e32 v128, v126
	v_mov_b32_e32 v129, v125
	v_pk_add_f32 v[118:119], v[128:129], v[118:119]
	v_pk_mul_f32 v[128:129], v[44:45], s[26:27] op_sel_hi:[1,0]
	v_pk_mul_f32 v[34:35], v[34:35], s[34:35] op_sel_hi:[1,0]
	v_pk_fma_f32 v[130:131], v[46:47], s[24:25], v[128:129] op_sel:[0,0,1] op_sel_hi:[1,0,0]
	v_pk_fma_f32 v[128:129], v[46:47], s[24:25], v[128:129] op_sel:[0,0,1] op_sel_hi:[1,0,0] neg_lo:[0,0,1] neg_hi:[0,0,1]
	v_mov_b32_e32 v132, v130
	v_mov_b32_e32 v133, v129
	v_pk_add_f32 v[118:119], v[132:133], v[118:119]
	v_pk_mul_f32 v[132:133], v[48:49], s[28:29] op_sel_hi:[1,0]
	v_pk_fma_f32 v[138:139], v[38:39], s[2:3], v[34:35] op_sel:[0,0,1] op_sel_hi:[1,0,0]
	v_pk_fma_f32 v[134:135], v[50:51], s[6:7], v[132:133] op_sel:[0,0,1] op_sel_hi:[1,0,0]
	v_pk_fma_f32 v[132:133], v[50:51], s[6:7], v[132:133] op_sel:[0,0,1] op_sel_hi:[1,0,0] neg_lo:[0,0,1] neg_hi:[0,0,1]
	v_mov_b32_e32 v136, v134
	v_mov_b32_e32 v137, v133
	v_pk_add_f32 v[118:119], v[136:137], v[118:119]
	v_pk_fma_f32 v[136:137], v[32:33], s[24:25], v[0:1] op_sel:[0,0,1] op_sel_hi:[1,0,0]
	v_pk_fma_f32 v[0:1], v[32:33], s[24:25], v[0:1] op_sel:[0,0,1] op_sel_hi:[1,0,0] neg_lo:[0,0,1] neg_hi:[0,0,1]
	v_mov_b32_e32 v32, v136
	v_mov_b32_e32 v33, v1
	v_pk_fma_f32 v[34:35], v[38:39], s[2:3], v[34:35] op_sel:[0,0,1] op_sel_hi:[1,0,0] neg_lo:[0,0,1] neg_hi:[0,0,1]
	v_pk_mul_f32 v[40:41], v[40:41], s[22:23] op_sel_hi:[1,0]
	v_pk_add_f32 v[32:33], v[36:37], v[32:33]
	v_mov_b32_e32 v38, v138
	v_mov_b32_e32 v39, v35
	v_pk_add_f32 v[32:33], v[38:39], v[32:33]
	v_pk_fma_f32 v[38:39], v[42:43], s[16:17], v[40:41] op_sel:[0,0,1] op_sel_hi:[1,0,0]
	v_pk_fma_f32 v[40:41], v[42:43], s[16:17], v[40:41] op_sel:[0,0,1] op_sel_hi:[1,0,0] neg_lo:[0,0,1] neg_hi:[0,0,1]
	v_pk_mul_f32 v[44:45], v[44:45], s[28:29] op_sel_hi:[1,0]
	v_mov_b32_e32 v42, v38
	v_mov_b32_e32 v43, v41
	;; [unrolled: 1-line block ×4, first 2 shown]
	v_pk_add_f32 v[32:33], v[42:43], v[32:33]
	v_pk_fma_f32 v[42:43], v[46:47], s[6:7], v[44:45] op_sel:[0,0,1] op_sel_hi:[1,0,0]
	v_pk_fma_f32 v[44:45], v[46:47], s[6:7], v[44:45] op_sel:[0,0,1] op_sel_hi:[1,0,0] neg_lo:[0,0,1] neg_hi:[0,0,1]
	v_pk_add_f32 v[0:1], v[36:37], v[0:1]
	v_mov_b32_e32 v35, v139
	v_pk_add_f32 v[6:7], v[36:37], v[6:7]
	v_mov_b32_e32 v121, v123
	v_pk_mul_f32 v[48:49], v[48:49], s[18:19] op_sel_hi:[1,0]
	v_mov_b32_e32 v46, v42
	v_mov_b32_e32 v47, v45
	v_pk_add_f32 v[0:1], v[34:35], v[0:1]
	v_mov_b32_e32 v41, v39
	v_pk_add_f32 v[6:7], v[120:121], v[6:7]
	;; [unrolled: 2-line block ×3, first 2 shown]
	v_pk_fma_f32 v[46:47], v[50:51], s[14:15], v[48:49] op_sel:[0,0,1] op_sel_hi:[1,0,0]
	v_pk_fma_f32 v[48:49], v[50:51], s[14:15], v[48:49] op_sel:[0,0,1] op_sel_hi:[1,0,0] neg_lo:[0,0,1] neg_hi:[0,0,1]
	v_pk_add_f32 v[0:1], v[40:41], v[0:1]
	v_mov_b32_e32 v45, v43
	v_pk_add_f32 v[6:7], v[124:125], v[6:7]
	v_mov_b32_e32 v129, v131
	v_mov_b32_e32 v51, v49
	v_pk_add_f32 v[0:1], v[44:45], v[0:1]
	v_mov_b32_e32 v49, v47
	v_pk_add_f32 v[6:7], v[128:129], v[6:7]
	;; [unrolled: 2-line block ×3, first 2 shown]
	v_pk_add_f32 v[6:7], v[132:133], v[6:7]
	v_mov_b32_e32 v97, v99
	v_mov_b32_e32 v3, v5
	ds_write2_b64 v57, v[0:1], v[6:7] offset0:96 offset1:112
	v_pk_add_f32 v[0:1], v[36:37], v[96:97]
	v_mov_b32_e32 v103, v105
	v_pk_add_f32 v[2:3], v[36:37], v[2:3]
	v_mov_b32_e32 v9, v11
	;; [unrolled: 2-line block ×8, first 2 shown]
	v_pk_add_f32 v[0:1], v[114:115], v[0:1]
	v_pk_add_f32 v[2:3], v[76:77], v[2:3]
	v_mov_b32_e32 v53, v55
	ds_write2_b64 v57, v[0:1], v[2:3] offset0:128 offset1:144
	v_pk_add_f32 v[0:1], v[36:37], v[52:53]
	v_mov_b32_e32 v79, v81
	v_pk_add_f32 v[0:1], v[78:79], v[0:1]
	v_mov_b32_e32 v83, v85
	;; [unrolled: 2-line block ×3, first 2 shown]
	v_mov_b32_e32 v50, v46
	v_pk_add_f32 v[0:1], v[86:87], v[0:1]
	v_mov_b32_e32 v91, v93
	v_pk_add_f32 v[32:33], v[50:51], v[32:33]
	v_pk_add_f32 v[0:1], v[90:91], v[0:1]
	ds_write2_b64 v57, v[118:119], v[32:33] offset0:64 offset1:80
	ds_write_b64 v57, v[0:1] offset:1280
.LBB0_45:
	s_or_b64 exec, exec, s[0:1]
	v_add_u32_e32 v38, 0xa00, v56
	s_waitcnt lgkmcnt(0)
	s_barrier
	ds_read2_b64 v[0:3], v38 offset0:32 offset1:208
	ds_read2_b64 v[4:7], v56 offset1:176
	v_add_u32_e32 v39, 0x1400, v56
	ds_read2_b64 v[8:11], v39 offset0:64 offset1:240
	ds_read_b64 v[16:17], v56 offset:8448
	v_mov_b32_e32 v32, v29
	s_waitcnt lgkmcnt(3)
	v_pk_mul_f32 v[34:35], v[28:29], v[2:3] op_sel:[0,1] op_sel_hi:[1,0]
	v_pk_mul_f32 v[18:19], v[28:29], v[2:3]
	v_mov_b32_e32 v34, v35
	s_waitcnt lgkmcnt(1)
	v_pk_mul_f32 v[36:37], v[30:31], v[8:9] op_sel:[0,1] op_sel_hi:[1,0]
	v_pk_mul_f32 v[32:33], v[32:33], v[2:3] op_sel:[0,1] op_sel_hi:[1,0]
	v_pk_fma_f32 v[2:3], v[28:29], v[2:3], v[34:35] op_sel:[0,1,0] op_sel_hi:[1,0,1] neg_lo:[0,0,1] neg_hi:[0,0,1]
	v_mov_b32_e32 v34, v31
	v_mov_b32_e32 v36, v37
	v_pk_mul_f32 v[28:29], v[30:31], v[8:9]
	v_pk_mul_f32 v[34:35], v[34:35], v[8:9] op_sel:[0,1] op_sel_hi:[1,0]
	v_pk_fma_f32 v[8:9], v[30:31], v[8:9], v[36:37] op_sel:[0,1,0] op_sel_hi:[1,0,1] neg_lo:[0,0,1] neg_hi:[0,0,1]
	v_pk_mul_f32 v[36:37], v[24:25], v[6:7] op_sel_hi:[1,0]
	v_mov_b32_e32 v30, v7
	v_pk_fma_f32 v[6:7], v[24:25], v[6:7], v[36:37] op_sel:[0,1,1] op_sel_hi:[1,1,0]
	v_pk_fma_f32 v[30:31], v[24:25], v[30:31], v[36:37] op_sel:[0,0,1] op_sel_hi:[1,1,0] neg_lo:[0,0,1] neg_hi:[0,0,1]
	v_mov_b32_e32 v6, v1
	v_pk_mul_f32 v[24:25], v[26:27], v[0:1] op_sel_hi:[1,0]
	v_mov_b32_e32 v31, v7
	v_pk_fma_f32 v[6:7], v[26:27], v[6:7], v[24:25] op_sel:[0,0,1] op_sel_hi:[1,1,0] neg_lo:[0,0,1] neg_hi:[0,0,1]
	v_pk_fma_f32 v[0:1], v[26:27], v[0:1], v[24:25] op_sel:[0,1,1] op_sel_hi:[1,1,0]
	v_pk_mul_f32 v[24:25], v[20:21], v[10:11] op_sel_hi:[1,0]
	v_mov_b32_e32 v0, v11
	v_pk_fma_f32 v[10:11], v[20:21], v[10:11], v[24:25] op_sel:[0,1,1] op_sel_hi:[1,1,0]
	v_mov_b32_e32 v7, v1
	v_pk_fma_f32 v[0:1], v[20:21], v[0:1], v[24:25] op_sel:[0,0,1] op_sel_hi:[1,1,0] neg_lo:[0,0,1] neg_hi:[0,0,1]
	s_waitcnt lgkmcnt(0)
	v_mov_b32_e32 v10, v17
	v_pk_mul_f32 v[20:21], v[22:23], v[16:17] op_sel_hi:[1,0]
	v_mov_b32_e32 v1, v11
	v_pk_fma_f32 v[10:11], v[22:23], v[10:11], v[20:21] op_sel:[0,0,1] op_sel_hi:[1,1,0] neg_lo:[0,0,1] neg_hi:[0,0,1]
	v_pk_fma_f32 v[16:17], v[22:23], v[16:17], v[20:21] op_sel:[0,1,1] op_sel_hi:[1,1,0]
	v_mov_b32_e32 v29, v30
	v_mov_b32_e32 v11, v17
	;; [unrolled: 1-line block ×5, first 2 shown]
	v_pk_add_f32 v[16:17], v[30:31], v[10:11]
	v_pk_add_f32 v[20:21], v[30:31], v[10:11] neg_lo:[0,1] neg_hi:[0,1]
	v_pk_add_f32 v[22:23], v[6:7], v[0:1]
	v_pk_add_f32 v[24:25], v[6:7], v[0:1] neg_lo:[0,1] neg_hi:[0,1]
	v_pk_add_f32 v[10:11], v[28:29], v[34:35]
	v_pk_add_f32 v[0:1], v[18:19], v[32:33]
	v_mov_b32_e32 v9, v10
	v_mov_b32_e32 v3, v0
	v_pk_add_f32 v[6:7], v[8:9], v[2:3] neg_lo:[0,1] neg_hi:[0,1]
	v_mov_b32_e32 v30, v23
	v_mov_b32_e32 v31, v2
	v_mov_b32_e32 v2, v17
	v_mov_b32_e32 v3, v8
	v_mad_u64_u32 v[14:15], s[0:1], s10, v66, 0
	v_pk_add_f32 v[2:3], v[30:31], v[2:3]
	v_pk_add_f32 v[8:9], v[0:1], v[10:11]
	v_mov_b32_e32 v12, s12
	v_mov_b32_e32 v13, s13
	;; [unrolled: 1-line block ×6, first 2 shown]
	s_mov_b32 s0, 0x3f08b237
	v_mov_b32_e32 v10, v8
	v_mov_b32_e32 v31, v3
	s_mov_b32 s12, 0x3d64c772
	v_pk_add_f32 v[18:19], v[18:19], v[26:27] neg_lo:[0,1] neg_hi:[0,1]
	s_mov_b32 s1, 0xbeae86e6
	v_mov_b32_e32 v26, v20
	v_mov_b32_e32 v28, v6
	;; [unrolled: 1-line block ×3, first 2 shown]
	v_pk_add_f32 v[30:31], v[10:11], v[30:31] neg_lo:[0,1] neg_hi:[0,1]
	v_mov_b32_e32 v32, v17
	v_mov_b32_e32 v33, v3
	;; [unrolled: 1-line block ×3, first 2 shown]
	v_pk_add_f32 v[2:3], v[2:3], v[8:9]
	s_mov_b32 s13, 0x3f4a47b2
	v_pk_mul_f32 v[18:19], v[18:19], s[0:1]
	v_pk_add_f32 v[26:27], v[26:27], v[28:29] neg_lo:[0,1] neg_hi:[0,1]
	s_mov_b32 s2, s1
	s_mov_b32 s3, s0
	v_pk_add_f32 v[6:7], v[6:7], v[24:25]
	v_pk_add_f32 v[32:33], v[32:33], v[0:1] neg_lo:[0,1] neg_hi:[0,1]
	v_pk_add_f32 v[4:5], v[4:5], v[2:3]
	s_mov_b32 s6, 0xbf955555
	v_pk_mul_f32 v[8:9], v[30:31], s[12:13]
	s_mov_b32 s14, s13
	s_mov_b32 s15, s12
	v_pk_mul_f32 v[28:29], v[26:27], s[2:3]
	v_pk_add_f32 v[6:7], v[6:7], v[20:21]
	s_mov_b32 s0, 0xbee1c552
	v_pk_mul_f32 v[30:31], v[32:33], s[14:15]
	v_pk_fma_f32 v[2:3], v[2:3], s[6:7], v[4:5] op_sel_hi:[1,0,1]
	v_pk_fma_f32 v[32:33], v[32:33], s[14:15], v[8:9]
	v_pk_fma_f32 v[26:27], v[26:27], s[2:3], v[18:19]
	v_pk_add_f32 v[32:33], v[32:33], v[2:3]
	v_pk_fma_f32 v[26:27], v[6:7], s[0:1], v[26:27] op_sel_hi:[1,0,1]
	v_mov_b32_e32 v0, v23
	v_pk_add_f32 v[34:35], v[32:33], v[26:27]
	v_pk_add_f32 v[26:27], v[32:33], v[26:27] neg_lo:[0,1] neg_hi:[0,1]
	v_mov_b32_e32 v32, v34
	v_mov_b32_e32 v33, v27
	;; [unrolled: 1-line block ×3, first 2 shown]
	ds_write2_b64 v56, v[4:5], v[32:33] offset1:176
	v_pk_add_f32 v[4:5], v[24:25], v[20:21] neg_lo:[0,1] neg_hi:[0,1]
	s_mov_b32 s2, 0xbf5ff5aa
	v_pk_add_f32 v[0:1], v[0:1], v[10:11] neg_lo:[0,1] neg_hi:[0,1]
	s_mov_b32 s6, 0x3f3bfb3b
	v_mov_b32_e32 v10, v30
	v_mov_b32_e32 v11, v9
	;; [unrolled: 1-line block ×6, first 2 shown]
	v_pk_fma_f32 v[10:11], v[0:1], s[6:7], v[10:11] op_sel_hi:[1,0,1] neg_lo:[1,0,1] neg_hi:[1,0,1]
	v_pk_fma_f32 v[16:17], v[4:5], s[2:3], v[16:17] op_sel_hi:[1,0,1] neg_lo:[1,0,1] neg_hi:[1,0,1]
	;; [unrolled: 1-line block ×4, first 2 shown]
	v_pk_add_f32 v[10:11], v[10:11], v[2:3]
	v_pk_fma_f32 v[16:17], v[6:7], s[0:1], v[16:17] op_sel_hi:[1,0,1]
	v_pk_add_f32 v[0:1], v[0:1], v[2:3]
	v_pk_fma_f32 v[2:3], v[6:7], s[0:1], v[4:5] op_sel_hi:[1,0,1]
	v_pk_add_f32 v[20:21], v[10:11], v[16:17]
	v_pk_add_f32 v[10:11], v[10:11], v[16:17] neg_lo:[0,1] neg_hi:[0,1]
	v_pk_add_f32 v[4:5], v[0:1], v[2:3] neg_lo:[0,1] neg_hi:[0,1]
	v_pk_add_f32 v[0:1], v[0:1], v[2:3]
	v_mov_b32_e32 v16, v20
	v_mov_b32_e32 v17, v11
	;; [unrolled: 1-line block ×7, first 2 shown]
	ds_write2_b64 v38, v[16:17], v[2:3] offset0:32 offset1:208
	ds_write2_b64 v39, v[0:1], v[10:11] offset0:64 offset1:240
	ds_write_b64 v56, v[26:27] offset:8448
	s_waitcnt lgkmcnt(0)
	s_barrier
	ds_read2_b64 v[0:3], v56 offset1:176
	v_mov_b32_e32 v4, v15
	v_mad_u64_u32 v[4:5], s[0:1], s11, v66, v[4:5]
	v_mov_b32_e32 v15, v4
	s_waitcnt lgkmcnt(0)
	v_mul_f32_e32 v4, v75, v1
	v_fmac_f32_e32 v4, v74, v0
	v_mul_f32_e32 v0, v75, v0
	s_mov_b32 s0, 0x606a63be
	v_fma_f32 v0, v74, v1, -v0
	s_mov_b32 s1, 0x3f4a98ef
	v_cvt_f64_f32_e32 v[0:1], v0
	v_cvt_f64_f32_e32 v[4:5], v4
	v_mul_f64 v[0:1], v[0:1], s[0:1]
	v_mul_f64 v[4:5], v[4:5], s[0:1]
	v_cvt_f32_f64_e32 v9, v[0:1]
	v_mad_u64_u32 v[0:1], s[2:3], s8, v60, 0
	v_cvt_f32_f64_e32 v8, v[4:5]
	v_mov_b32_e32 v4, v1
	v_add_u32_e32 v1, 0x1200, v56
	v_mad_u64_u32 v[10:11], s[2:3], s9, v60, v[4:5]
	ds_read2_b64 v[4:7], v1 offset0:40 offset1:216
	v_mov_b32_e32 v1, v10
	v_lshl_add_u64 v[10:11], v[14:15], 3, v[12:13]
	v_lshl_add_u64 v[0:1], v[0:1], 3, v[10:11]
	global_store_dwordx2 v[0:1], v[8:9], off
	s_waitcnt lgkmcnt(0)
	v_mul_f32_e32 v8, v73, v5
	v_fmac_f32_e32 v8, v72, v4
	v_mul_f32_e32 v4, v73, v4
	v_fma_f32 v4, v72, v5, -v4
	v_cvt_f64_f32_e32 v[8:9], v8
	v_cvt_f64_f32_e32 v[4:5], v4
	v_mul_f64 v[8:9], v[8:9], s[0:1]
	v_mul_f64 v[4:5], v[4:5], s[0:1]
	v_cvt_f32_f64_e32 v8, v[8:9]
	v_cvt_f32_f64_e32 v9, v[4:5]
	v_mul_f32_e32 v4, v71, v3
	v_fmac_f32_e32 v4, v70, v2
	v_mul_f32_e32 v2, v71, v2
	v_fma_f32 v2, v70, v3, -v2
	v_cvt_f64_f32_e32 v[4:5], v4
	v_cvt_f64_f32_e32 v[2:3], v2
	v_mul_f64 v[4:5], v[4:5], s[0:1]
	v_mul_f64 v[2:3], v[2:3], s[0:1]
	v_cvt_f32_f64_e32 v4, v[4:5]
	v_cvt_f32_f64_e32 v5, v[2:3]
	v_mul_f32_e32 v2, v69, v7
	v_fmac_f32_e32 v2, v68, v6
	s_mul_i32 s2, s9, 0x268
	s_mul_hi_u32 s3, s8, 0x268
	s_mul_hi_u32 s7, s8, 0xfffffe48
	v_cvt_f64_f32_e32 v[2:3], v2
	s_add_i32 s3, s3, s2
	s_mul_i32 s2, s8, 0x268
	s_mul_i32 s6, s9, 0xfffffe48
	s_sub_i32 s7, s7, s8
	v_mul_f64 v[2:3], v[2:3], s[0:1]
	s_lshl_b64 s[10:11], s[2:3], 3
	s_add_i32 s7, s7, s6
	s_mul_i32 s6, s8, 0xfffffe48
	v_cvt_f32_f64_e32 v2, v[2:3]
	v_mul_f32_e32 v3, v69, v6
	v_lshl_add_u64 v[0:1], v[0:1], 0, s[10:11]
	s_lshl_b64 s[8:9], s[6:7], 3
	v_fma_f32 v3, v68, v7, -v3
	ds_read_b64 v[6:7], v56 offset:2816
	global_store_dwordx2 v[0:1], v[8:9], off
	v_lshl_add_u64 v[0:1], v[0:1], 0, s[8:9]
	global_store_dwordx2 v[0:1], v[4:5], off
	v_cvt_f64_f32_e32 v[4:5], v3
	v_mul_f64 v[4:5], v[4:5], s[0:1]
	v_cvt_f32_f64_e32 v3, v[4:5]
	v_lshl_add_u64 v[0:1], v[0:1], 0, s[10:11]
	global_store_dwordx2 v[0:1], v[2:3], off
	ds_read_b64 v[2:3], v56 offset:7744
	s_waitcnt lgkmcnt(1)
	v_mul_f32_e32 v4, v65, v7
	v_fmac_f32_e32 v4, v64, v6
	v_cvt_f64_f32_e32 v[4:5], v4
	v_mul_f64 v[4:5], v[4:5], s[0:1]
	v_cvt_f32_f64_e32 v4, v[4:5]
	v_mul_f32_e32 v5, v65, v6
	v_fma_f32 v5, v64, v7, -v5
	v_cvt_f64_f32_e32 v[6:7], v5
	v_mul_f64 v[6:7], v[6:7], s[0:1]
	v_cvt_f32_f64_e32 v5, v[6:7]
	v_lshl_add_u64 v[0:1], v[0:1], 0, s[8:9]
	global_store_dwordx2 v[0:1], v[4:5], off
	s_waitcnt lgkmcnt(0)
	v_mul_f32_e32 v4, v63, v3
	v_fmac_f32_e32 v4, v62, v2
	v_mul_f32_e32 v2, v63, v2
	v_fma_f32 v2, v62, v3, -v2
	v_cvt_f64_f32_e32 v[4:5], v4
	v_cvt_f64_f32_e32 v[2:3], v2
	v_mul_f64 v[4:5], v[4:5], s[0:1]
	v_mul_f64 v[2:3], v[2:3], s[0:1]
	v_cvt_f32_f64_e32 v4, v[4:5]
	v_cvt_f32_f64_e32 v5, v[2:3]
	v_lshl_add_u64 v[0:1], v[0:1], 0, s[10:11]
	global_store_dwordx2 v[0:1], v[4:5], off
	s_and_b64 exec, exec, s[4:5]
	s_cbranch_execz .LBB0_47
; %bb.46:
	v_add_co_u32_e32 v2, vcc, 0x1000, v58
	s_movk_i32 s4, 0x2000
	s_nop 0
	v_addc_co_u32_e32 v3, vcc, 0, v59, vcc
	v_add_co_u32_e32 v4, vcc, s4, v58
	global_load_dwordx2 v[2:3], v[2:3], off offset:128
	s_nop 0
	v_addc_co_u32_e32 v5, vcc, 0, v59, vcc
	global_load_dwordx2 v[4:5], v[4:5], off offset:960
	ds_read_b64 v[6:7], v56 offset:4224
	ds_read_b64 v[8:9], v56 offset:9152
	v_lshl_add_u64 v[0:1], s[6:7], 3, v[0:1]
	v_lshl_add_u64 v[10:11], s[2:3], 3, v[0:1]
	s_waitcnt vmcnt(1) lgkmcnt(1)
	v_mul_f32_e32 v12, v7, v3
	v_mul_f32_e32 v3, v6, v3
	v_fmac_f32_e32 v12, v6, v2
	s_waitcnt vmcnt(0) lgkmcnt(0)
	v_mul_f32_e32 v13, v9, v5
	v_mul_f32_e32 v5, v8, v5
	v_fma_f32 v6, v2, v7, -v3
	v_fmac_f32_e32 v13, v8, v4
	v_fma_f32 v8, v4, v9, -v5
	v_cvt_f64_f32_e32 v[2:3], v12
	v_cvt_f64_f32_e32 v[4:5], v6
	;; [unrolled: 1-line block ×4, first 2 shown]
	v_mul_f64 v[2:3], v[2:3], s[0:1]
	v_mul_f64 v[4:5], v[4:5], s[0:1]
	;; [unrolled: 1-line block ×4, first 2 shown]
	v_cvt_f32_f64_e32 v2, v[2:3]
	v_cvt_f32_f64_e32 v3, v[4:5]
	;; [unrolled: 1-line block ×4, first 2 shown]
	global_store_dwordx2 v[0:1], v[2:3], off
	global_store_dwordx2 v[10:11], v[4:5], off
.LBB0_47:
	s_endpgm
	.section	.rodata,"a",@progbits
	.p2align	6, 0x0
	.amdhsa_kernel bluestein_single_back_len1232_dim1_sp_op_CI_CI
		.amdhsa_group_segment_fixed_size 9856
		.amdhsa_private_segment_fixed_size 0
		.amdhsa_kernarg_size 104
		.amdhsa_user_sgpr_count 2
		.amdhsa_user_sgpr_dispatch_ptr 0
		.amdhsa_user_sgpr_queue_ptr 0
		.amdhsa_user_sgpr_kernarg_segment_ptr 1
		.amdhsa_user_sgpr_dispatch_id 0
		.amdhsa_user_sgpr_kernarg_preload_length 0
		.amdhsa_user_sgpr_kernarg_preload_offset 0
		.amdhsa_user_sgpr_private_segment_size 0
		.amdhsa_uses_dynamic_stack 0
		.amdhsa_enable_private_segment 0
		.amdhsa_system_sgpr_workgroup_id_x 1
		.amdhsa_system_sgpr_workgroup_id_y 0
		.amdhsa_system_sgpr_workgroup_id_z 0
		.amdhsa_system_sgpr_workgroup_info 0
		.amdhsa_system_vgpr_workitem_id 0
		.amdhsa_next_free_vgpr 196
		.amdhsa_next_free_sgpr 40
		.amdhsa_accum_offset 196
		.amdhsa_reserve_vcc 1
		.amdhsa_float_round_mode_32 0
		.amdhsa_float_round_mode_16_64 0
		.amdhsa_float_denorm_mode_32 3
		.amdhsa_float_denorm_mode_16_64 3
		.amdhsa_dx10_clamp 1
		.amdhsa_ieee_mode 1
		.amdhsa_fp16_overflow 0
		.amdhsa_tg_split 0
		.amdhsa_exception_fp_ieee_invalid_op 0
		.amdhsa_exception_fp_denorm_src 0
		.amdhsa_exception_fp_ieee_div_zero 0
		.amdhsa_exception_fp_ieee_overflow 0
		.amdhsa_exception_fp_ieee_underflow 0
		.amdhsa_exception_fp_ieee_inexact 0
		.amdhsa_exception_int_div_zero 0
	.end_amdhsa_kernel
	.text
.Lfunc_end0:
	.size	bluestein_single_back_len1232_dim1_sp_op_CI_CI, .Lfunc_end0-bluestein_single_back_len1232_dim1_sp_op_CI_CI
                                        ; -- End function
	.section	.AMDGPU.csdata,"",@progbits
; Kernel info:
; codeLenInByte = 10864
; NumSgprs: 46
; NumVgprs: 196
; NumAgprs: 0
; TotalNumVgprs: 196
; ScratchSize: 0
; MemoryBound: 0
; FloatMode: 240
; IeeeMode: 1
; LDSByteSize: 9856 bytes/workgroup (compile time only)
; SGPRBlocks: 5
; VGPRBlocks: 24
; NumSGPRsForWavesPerEU: 46
; NumVGPRsForWavesPerEU: 196
; AccumOffset: 196
; Occupancy: 2
; WaveLimiterHint : 1
; COMPUTE_PGM_RSRC2:SCRATCH_EN: 0
; COMPUTE_PGM_RSRC2:USER_SGPR: 2
; COMPUTE_PGM_RSRC2:TRAP_HANDLER: 0
; COMPUTE_PGM_RSRC2:TGID_X_EN: 1
; COMPUTE_PGM_RSRC2:TGID_Y_EN: 0
; COMPUTE_PGM_RSRC2:TGID_Z_EN: 0
; COMPUTE_PGM_RSRC2:TIDIG_COMP_CNT: 0
; COMPUTE_PGM_RSRC3_GFX90A:ACCUM_OFFSET: 48
; COMPUTE_PGM_RSRC3_GFX90A:TG_SPLIT: 0
	.text
	.p2alignl 6, 3212836864
	.fill 256, 4, 3212836864
	.type	__hip_cuid_eeffd5f4be160102,@object ; @__hip_cuid_eeffd5f4be160102
	.section	.bss,"aw",@nobits
	.globl	__hip_cuid_eeffd5f4be160102
__hip_cuid_eeffd5f4be160102:
	.byte	0                               ; 0x0
	.size	__hip_cuid_eeffd5f4be160102, 1

	.ident	"AMD clang version 19.0.0git (https://github.com/RadeonOpenCompute/llvm-project roc-6.4.0 25133 c7fe45cf4b819c5991fe208aaa96edf142730f1d)"
	.section	".note.GNU-stack","",@progbits
	.addrsig
	.addrsig_sym __hip_cuid_eeffd5f4be160102
	.amdgpu_metadata
---
amdhsa.kernels:
  - .agpr_count:     0
    .args:
      - .actual_access:  read_only
        .address_space:  global
        .offset:         0
        .size:           8
        .value_kind:     global_buffer
      - .actual_access:  read_only
        .address_space:  global
        .offset:         8
        .size:           8
        .value_kind:     global_buffer
      - .actual_access:  read_only
        .address_space:  global
        .offset:         16
        .size:           8
        .value_kind:     global_buffer
      - .actual_access:  read_only
        .address_space:  global
        .offset:         24
        .size:           8
        .value_kind:     global_buffer
      - .actual_access:  read_only
        .address_space:  global
        .offset:         32
        .size:           8
        .value_kind:     global_buffer
      - .offset:         40
        .size:           8
        .value_kind:     by_value
      - .address_space:  global
        .offset:         48
        .size:           8
        .value_kind:     global_buffer
      - .address_space:  global
        .offset:         56
        .size:           8
        .value_kind:     global_buffer
      - .address_space:  global
        .offset:         64
        .size:           8
        .value_kind:     global_buffer
      - .address_space:  global
        .offset:         72
        .size:           8
        .value_kind:     global_buffer
      - .offset:         80
        .size:           4
        .value_kind:     by_value
      - .address_space:  global
        .offset:         88
        .size:           8
        .value_kind:     global_buffer
      - .address_space:  global
        .offset:         96
        .size:           8
        .value_kind:     global_buffer
    .group_segment_fixed_size: 9856
    .kernarg_segment_align: 8
    .kernarg_segment_size: 104
    .language:       OpenCL C
    .language_version:
      - 2
      - 0
    .max_flat_workgroup_size: 176
    .name:           bluestein_single_back_len1232_dim1_sp_op_CI_CI
    .private_segment_fixed_size: 0
    .sgpr_count:     46
    .sgpr_spill_count: 0
    .symbol:         bluestein_single_back_len1232_dim1_sp_op_CI_CI.kd
    .uniform_work_group_size: 1
    .uses_dynamic_stack: false
    .vgpr_count:     196
    .vgpr_spill_count: 0
    .wavefront_size: 64
amdhsa.target:   amdgcn-amd-amdhsa--gfx950
amdhsa.version:
  - 1
  - 2
...

	.end_amdgpu_metadata
